;; amdgpu-corpus repo=ROCm/rocFFT kind=compiled arch=gfx1201 opt=O3
	.text
	.amdgcn_target "amdgcn-amd-amdhsa--gfx1201"
	.amdhsa_code_object_version 6
	.protected	bluestein_single_fwd_len1512_dim1_sp_op_CI_CI ; -- Begin function bluestein_single_fwd_len1512_dim1_sp_op_CI_CI
	.globl	bluestein_single_fwd_len1512_dim1_sp_op_CI_CI
	.p2align	8
	.type	bluestein_single_fwd_len1512_dim1_sp_op_CI_CI,@function
bluestein_single_fwd_len1512_dim1_sp_op_CI_CI: ; @bluestein_single_fwd_len1512_dim1_sp_op_CI_CI
; %bb.0:
	s_load_b128 s[12:15], s[0:1], 0x28
	v_mul_u32_u24_e32 v1, 0x411, v0
	s_mov_b32 s2, exec_lo
	v_mov_b32_e32 v5, 0
	s_delay_alu instid0(VALU_DEP_2) | instskip(NEXT) | instid1(VALU_DEP_1)
	v_lshrrev_b32_e32 v1, 16, v1
	v_add_nc_u32_e32 v4, ttmp9, v1
	s_wait_kmcnt 0x0
	s_delay_alu instid0(VALU_DEP_1)
	v_cmpx_gt_u64_e64 s[12:13], v[4:5]
	s_cbranch_execz .LBB0_10
; %bb.1:
	s_clause 0x1
	s_load_b128 s[4:7], s[0:1], 0x18
	s_load_b128 s[8:11], s[0:1], 0x0
	v_mul_lo_u16 v1, v1, 63
                                        ; implicit-def: $vgpr249
	v_mov_b32_e32 v5, v4
	s_delay_alu instid0(VALU_DEP_2) | instskip(SKIP_2) | instid1(VALU_DEP_1)
	v_sub_nc_u16 v64, v0, v1
	scratch_store_b64 off, v[5:6], off      ; 8-byte Folded Spill
	v_and_b32_e32 v172, 0xffff, v64
	v_lshlrev_b32_e32 v251, 3, v172
	v_add_co_u32 v178, null, 0xbd, v172
	s_wait_kmcnt 0x0
	s_load_b128 s[16:19], s[4:5], 0x0
	s_movk_i32 s4, 0xea58
	global_load_b64 v[22:23], v251, s[8:9]
	s_mov_b32 s5, -1
	v_and_b32_e32 v56, 1, v172
	v_lshlrev_b32_e32 v62, 1, v178
	v_and_b32_e32 v70, 3, v172
	v_and_b32_e32 v80, 3, v178
	v_lshlrev_b32_e32 v151, 4, v172
	v_add_nc_u32_e32 v83, 0x2b5, v172
	v_add_nc_u32_e32 v69, 0x237, v172
	v_and_b32_e32 v57, 1, v178
	s_delay_alu instid0(VALU_DEP_3) | instskip(NEXT) | instid1(VALU_DEP_3)
	v_and_b32_e32 v55, 1, v83
	v_and_b32_e32 v60, 1, v69
	s_wait_kmcnt 0x0
	v_mad_co_u64_u32 v[0:1], null, s18, v4, 0
	v_mad_co_u64_u32 v[2:3], null, s16, v172, 0
	s_mul_u64 s[2:3], s[16:17], 0x17a0
	s_mul_u64 s[4:5], s[16:17], s[4:5]
	s_delay_alu instid0(VALU_DEP_1) | instskip(NEXT) | instid1(VALU_DEP_1)
	v_mad_co_u64_u32 v[4:5], null, s19, v4, v[1:2]
	v_mad_co_u64_u32 v[5:6], null, s17, v172, v[3:4]
	v_mov_b32_e32 v1, v4
	s_delay_alu instid0(VALU_DEP_1) | instskip(NEXT) | instid1(VALU_DEP_3)
	v_lshlrev_b64_e32 v[0:1], 3, v[0:1]
	v_mov_b32_e32 v3, v5
	s_delay_alu instid0(VALU_DEP_1) | instskip(NEXT) | instid1(VALU_DEP_3)
	v_lshlrev_b64_e32 v[2:3], 3, v[2:3]
	v_add_co_u32 v0, vcc_lo, s14, v0
	s_delay_alu instid0(VALU_DEP_4) | instskip(NEXT) | instid1(VALU_DEP_2)
	v_add_co_ci_u32_e32 v1, vcc_lo, s15, v1, vcc_lo
	v_add_co_u32 v0, vcc_lo, v0, v2
	s_wait_alu 0xfffd
	s_delay_alu instid0(VALU_DEP_2)
	v_add_co_ci_u32_e32 v1, vcc_lo, v1, v3, vcc_lo
	global_load_b64 v[2:3], v[0:1], off
	v_add_co_u32 v0, vcc_lo, v0, s2
	s_wait_alu 0xfffd
	v_add_co_ci_u32_e32 v1, vcc_lo, s3, v1, vcc_lo
	global_load_b64 v[28:29], v251, s[8:9] offset:6048
	global_load_b64 v[4:5], v[0:1], off
	v_add_co_u32 v0, vcc_lo, v0, s4
	s_wait_alu 0xfffd
	v_add_co_ci_u32_e32 v1, vcc_lo, s5, v1, vcc_lo
	s_wait_loadcnt 0x2
	v_mul_f32_e32 v16, v3, v23
	s_delay_alu instid0(VALU_DEP_1)
	v_fmac_f32_e32 v16, v2, v22
	s_wait_loadcnt 0x0
	v_mul_f32_e32 v18, v5, v29
	global_load_b64 v[34:35], v251, s[8:9] offset:504
	global_load_b64 v[6:7], v[0:1], off
	v_add_co_u32 v0, vcc_lo, v0, s2
	s_wait_alu 0xfffd
	v_add_co_ci_u32_e32 v1, vcc_lo, s3, v1, vcc_lo
	s_clause 0x1
	global_load_b64 v[30:31], v251, s[8:9] offset:1008
	global_load_b64 v[32:33], v251, s[8:9] offset:1512
	v_add_co_u32 v8, vcc_lo, v0, s4
	s_wait_alu 0xfffd
	v_add_co_ci_u32_e32 v9, vcc_lo, s5, v1, vcc_lo
	v_dual_mul_f32 v17, v2, v23 :: v_dual_fmac_f32 v18, v4, v28
	s_delay_alu instid0(VALU_DEP_3) | instskip(SKIP_1) | instid1(VALU_DEP_3)
	v_add_co_u32 v10, vcc_lo, v8, s2
	s_wait_alu 0xfffd
	v_add_co_ci_u32_e32 v11, vcc_lo, s3, v9, vcc_lo
	s_delay_alu instid0(VALU_DEP_3) | instskip(NEXT) | instid1(VALU_DEP_3)
	v_fma_f32 v17, v3, v22, -v17
	v_add_co_u32 v12, vcc_lo, v10, s4
	s_wait_alu 0xfffd
	s_delay_alu instid0(VALU_DEP_3)
	v_add_co_ci_u32_e32 v13, vcc_lo, s5, v11, vcc_lo
	s_clause 0x2
	global_load_b64 v[26:27], v251, s[8:9] offset:6552
	global_load_b64 v[24:25], v251, s[8:9] offset:7056
	;; [unrolled: 1-line block ×3, first 2 shown]
	s_clause 0x1
	global_load_b64 v[0:1], v[0:1], off
	global_load_b64 v[8:9], v[8:9], off
	;; [unrolled: 1-line block ×4, first 2 shown]
	v_add_co_u32 v12, vcc_lo, v12, s2
	s_wait_alu 0xfffd
	v_add_co_ci_u32_e32 v13, vcc_lo, s3, v13, vcc_lo
	v_mul_f32_e32 v3, v4, v29
	s_delay_alu instid0(VALU_DEP_3) | instskip(SKIP_1) | instid1(VALU_DEP_3)
	v_add_co_u32 v20, vcc_lo, v12, s4
	s_wait_alu 0xfffd
	v_add_co_ci_u32_e32 v21, vcc_lo, s5, v13, vcc_lo
	global_load_b64 v[12:13], v[12:13], off
	v_add_co_u32 v4, vcc_lo, v20, s2
	v_add_nc_u32_e32 v65, 0x1800, v251
	s_clause 0x1
	scratch_store_b64 off, v[22:23], off offset:12
	scratch_store_b64 off, v[28:29], off offset:36
	v_add_nc_u32_e32 v73, 0x400, v251
	v_add_nc_u32_e32 v75, 0xc00, v251
	;; [unrolled: 1-line block ×9, first 2 shown]
	s_wait_loadcnt 0xa
	v_mul_f32_e32 v2, v7, v35
	v_fma_f32 v19, v5, v28, -v3
	v_mul_f32_e32 v3, v6, v35
	s_wait_alu 0xfffd
	v_add_co_ci_u32_e32 v5, vcc_lo, s3, v21, vcc_lo
	v_fmac_f32_e32 v2, v6, v34
	ds_store_b64 v251, v[18:19] offset:6048
	v_fma_f32 v3, v7, v34, -v3
	global_load_b64 v[6:7], v[4:5], off
	global_load_b64 v[18:19], v251, s[8:9] offset:8064
	s_wait_loadcnt 0xb
	scratch_store_b64 off, v[30:31], off offset:44 ; 8-byte Folded Spill
	s_wait_loadcnt 0xa
	scratch_store_b64 off, v[32:33], off offset:52 ; 8-byte Folded Spill
	ds_store_2addr_b64 v251, v[16:17], v[2:3] offset1:63
	scratch_store_b64 off, v[34:35], off offset:60 ; 8-byte Folded Spill
	s_wait_loadcnt 0x9
	scratch_store_b64 off, v[26:27], off offset:28 ; 8-byte Folded Spill
	s_wait_loadcnt 0x8
	;; [unrolled: 2-line block ×3, first 2 shown]
	v_mul_f32_e32 v2, v1, v27
	v_mul_f32_e32 v3, v0, v27
	s_wait_loadcnt 0x4
	v_dual_mul_f32 v17, v8, v31 :: v_dual_mul_f32 v16, v11, v25
	s_delay_alu instid0(VALU_DEP_3) | instskip(NEXT) | instid1(VALU_DEP_3)
	v_fmac_f32_e32 v2, v0, v26
	v_fma_f32 v3, v1, v26, -v3
	v_mul_f32_e32 v0, v9, v31
	s_delay_alu instid0(VALU_DEP_4) | instskip(SKIP_4) | instid1(VALU_DEP_3)
	v_fma_f32 v1, v9, v30, -v17
	v_mul_f32_e32 v9, v10, v25
	v_fmac_f32_e32 v16, v10, v24
	s_wait_loadcnt 0x2
	v_mul_f32_e32 v10, v12, v37
	v_fma_f32 v17, v11, v24, -v9
	v_dual_mul_f32 v9, v14, v33 :: v_dual_fmac_f32 v0, v8, v30
	v_mul_f32_e32 v8, v15, v33
	ds_store_2addr_b64 v65, v[2:3], v[16:17] offset0:51 offset1:114
	v_fma_f32 v3, v13, v36, -v10
	v_fma_f32 v9, v15, v32, -v9
	v_fmac_f32_e32 v8, v14, v32
	s_clause 0x2
	global_load_b64 v[22:23], v251, s[8:9] offset:8568
	global_load_b64 v[14:15], v251, s[8:9] offset:9072
	;; [unrolled: 1-line block ×3, first 2 shown]
	v_mul_f32_e32 v2, v13, v37
	scratch_store_b64 off, v[36:37], off offset:172 ; 8-byte Folded Spill
	v_fmac_f32_e32 v2, v12, v36
	global_load_b64 v[12:13], v[20:21], off
	global_load_b64 v[20:21], v251, s[8:9] offset:2016
	s_wait_loadcnt 0x5
	v_mul_f32_e32 v10, v6, v19
	scratch_store_b64 off, v[18:19], off offset:148 ; 8-byte Folded Spill
	v_fma_f32 v11, v7, v18, -v10
	v_mul_f32_e32 v10, v7, v19
	s_delay_alu instid0(VALU_DEP_1)
	v_fmac_f32_e32 v10, v6, v18
	ds_store_2addr_b64 v251, v[0:1], v[8:9] offset0:126 offset1:189
	ds_store_2addr_b64 v65, v[2:3], v[10:11] offset0:177 offset1:240
	v_add_co_u32 v0, vcc_lo, v4, s4
	s_wait_alu 0xfffd
	v_add_co_ci_u32_e32 v1, vcc_lo, s5, v5, vcc_lo
	s_clause 0x2
	global_load_b64 v[7:8], v251, s[8:9] offset:2520
	global_load_b64 v[18:19], v251, s[8:9] offset:3024
	;; [unrolled: 1-line block ×3, first 2 shown]
	global_load_b64 v[4:5], v[0:1], off
	v_add_co_u32 v0, vcc_lo, v0, s2
	s_wait_alu 0xfffd
	v_add_co_ci_u32_e32 v1, vcc_lo, s3, v1, vcc_lo
	s_wait_loadcnt 0x7
	scratch_store_b64 off, v[14:15], off offset:68 ; 8-byte Folded Spill
	s_wait_loadcnt 0x6
	s_clause 0x1
	scratch_store_b64 off, v[16:17], off offset:92
	scratch_store_b64 off, v[22:23], off offset:164
	s_wait_loadcnt 0x4
	v_mul_f32_e32 v2, v12, v21
	scratch_store_b64 off, v[20:21], off offset:196 ; 8-byte Folded Spill
	v_fma_f32 v3, v13, v20, -v2
	v_mul_f32_e32 v2, v13, v21
	s_delay_alu instid0(VALU_DEP_1)
	v_fmac_f32_e32 v2, v12, v20
	s_wait_loadcnt 0x3
	scratch_store_b64 off, v[7:8], off offset:188 ; 8-byte Folded Spill
	s_wait_loadcnt 0x2
	scratch_store_b64 off, v[18:19], off offset:180 ; 8-byte Folded Spill
	s_wait_loadcnt 0x1
	scratch_store_b64 off, v[9:10], off offset:116 ; 8-byte Folded Spill
	s_wait_loadcnt 0x0
	v_mul_f32_e32 v6, v4, v8
	s_delay_alu instid0(VALU_DEP_1) | instskip(SKIP_1) | instid1(VALU_DEP_1)
	v_fma_f32 v6, v5, v7, -v6
	v_mul_f32_e32 v5, v5, v8
	v_fmac_f32_e32 v5, v4, v7
	ds_store_2addr_b64 v73, v[2:3], v[5:6] offset0:124 offset1:187
	v_add_co_u32 v2, vcc_lo, v0, s4
	s_wait_alu 0xfffd
	v_add_co_ci_u32_e32 v3, vcc_lo, s5, v1, vcc_lo
	global_load_b64 v[0:1], v[0:1], off
	s_wait_loadcnt 0x0
	v_mul_f32_e32 v4, v0, v23
	s_delay_alu instid0(VALU_DEP_1) | instskip(SKIP_1) | instid1(VALU_DEP_1)
	v_fma_f32 v5, v1, v22, -v4
	v_mul_f32_e32 v4, v1, v23
	v_fmac_f32_e32 v4, v0, v22
	v_add_co_u32 v0, vcc_lo, v2, s2
	s_wait_alu 0xfffd
	v_add_co_ci_u32_e32 v1, vcc_lo, s3, v3, vcc_lo
	global_load_b64 v[2:3], v[2:3], off
	global_load_b64 v[6:7], v[0:1], off
	v_add_co_u32 v0, vcc_lo, v0, s4
	s_wait_alu 0xfffd
	v_add_co_ci_u32_e32 v1, vcc_lo, s5, v1, vcc_lo
	s_wait_loadcnt 0x0
	v_mul_f32_e32 v8, v6, v15
	s_delay_alu instid0(VALU_DEP_1) | instskip(SKIP_1) | instid1(VALU_DEP_1)
	v_fma_f32 v8, v7, v14, -v8
	v_mul_f32_e32 v7, v7, v15
	v_fmac_f32_e32 v7, v6, v14
	ds_store_2addr_b64 v76, v[4:5], v[7:8] offset0:47 offset1:110
	global_load_b64 v[5:6], v[0:1], off
	v_mul_f32_e32 v4, v2, v19
	v_add_co_u32 v0, vcc_lo, v0, s2
	s_wait_alu 0xfffd
	v_add_co_ci_u32_e32 v1, vcc_lo, s3, v1, vcc_lo
	s_delay_alu instid0(VALU_DEP_3) | instskip(SKIP_1) | instid1(VALU_DEP_1)
	v_fma_f32 v4, v3, v18, -v4
	v_mul_f32_e32 v3, v3, v19
	v_fmac_f32_e32 v3, v2, v18
	s_wait_loadcnt 0x0
	v_mul_f32_e32 v2, v5, v10
	s_delay_alu instid0(VALU_DEP_1) | instskip(SKIP_2) | instid1(VALU_DEP_2)
	v_fma_f32 v7, v6, v9, -v2
	v_mul_f32_e32 v6, v6, v10
	v_add_co_u32 v2, vcc_lo, v0, s4
	v_fmac_f32_e32 v6, v5, v9
	ds_store_2addr_b64 v168, v[3:4], v[6:7] offset0:122 offset1:185
	s_wait_alu 0xfffd
	v_add_co_ci_u32_e32 v3, vcc_lo, s5, v1, vcc_lo
	global_load_b64 v[0:1], v[0:1], off
	s_wait_loadcnt 0x0
	v_mul_f32_e32 v4, v0, v17
	s_delay_alu instid0(VALU_DEP_1) | instskip(SKIP_1) | instid1(VALU_DEP_1)
	v_fma_f32 v5, v1, v16, -v4
	v_mul_f32_e32 v4, v1, v17
	v_fmac_f32_e32 v4, v0, v16
	v_add_co_u32 v0, vcc_lo, v2, s2
	s_wait_alu 0xfffd
	v_add_co_ci_u32_e32 v1, vcc_lo, s3, v3, vcc_lo
	global_load_b64 v[6:7], v[0:1], off
	s_clause 0x3
	global_load_b64 v[11:12], v251, s[8:9] offset:10080
	global_load_b64 v[15:16], v251, s[8:9] offset:10584
	;; [unrolled: 1-line block ×4, first 2 shown]
	v_add_co_u32 v0, vcc_lo, v0, s4
	s_wait_alu 0xfffd
	v_add_co_ci_u32_e32 v1, vcc_lo, s5, v1, vcc_lo
	s_wait_loadcnt 0x3
	v_mul_f32_e32 v8, v6, v12
	scratch_store_b64 off, v[11:12], off offset:84 ; 8-byte Folded Spill
	v_fma_f32 v8, v7, v11, -v8
	v_mul_f32_e32 v7, v7, v12
	s_delay_alu instid0(VALU_DEP_1)
	v_fmac_f32_e32 v7, v6, v11
	ds_store_2addr_b64 v76, v[4:5], v[7:8] offset0:173 offset1:236
	global_load_b64 v[2:3], v[2:3], off
	s_clause 0x3
	global_load_b64 v[5:6], v251, s[8:9] offset:4032
	global_load_b64 v[19:20], v251, s[8:9] offset:4536
	;; [unrolled: 1-line block ×4, first 2 shown]
	s_wait_loadcnt 0x6
	scratch_store_b64 off, v[9:10], off offset:76 ; 8-byte Folded Spill
	s_wait_loadcnt 0x5
	s_clause 0x1
	scratch_store_b64 off, v[13:14], off offset:100
	scratch_store_b64 off, v[15:16], off offset:124
	s_wait_loadcnt 0x3
	v_mul_f32_e32 v4, v2, v6
	scratch_store_b64 off, v[5:6], off offset:156 ; 8-byte Folded Spill
	s_wait_loadcnt 0x2
	scratch_store_b64 off, v[19:20], off offset:140 ; 8-byte Folded Spill
	s_wait_loadcnt 0x1
	;; [unrolled: 2-line block ×3, first 2 shown]
	scratch_store_b64 off, v[11:12], off offset:108 ; 8-byte Folded Spill
	v_fma_f32 v4, v3, v5, -v4
	v_mul_f32_e32 v3, v3, v6
	s_delay_alu instid0(VALU_DEP_1)
	v_fmac_f32_e32 v3, v2, v5
	global_load_b64 v[5:6], v[0:1], off
	v_add_co_u32 v0, vcc_lo, v0, s2
	s_wait_alu 0xfffd
	v_add_co_ci_u32_e32 v1, vcc_lo, s3, v1, vcc_lo
	s_wait_loadcnt 0x0
	v_mul_f32_e32 v2, v5, v20
	s_delay_alu instid0(VALU_DEP_1) | instskip(SKIP_2) | instid1(VALU_DEP_2)
	v_fma_f32 v7, v6, v19, -v2
	v_mul_f32_e32 v6, v6, v20
	v_add_co_u32 v2, vcc_lo, v0, s4
	v_fmac_f32_e32 v6, v5, v19
	ds_store_2addr_b64 v75, v[3:4], v[6:7] offset0:120 offset1:183
	s_wait_alu 0xfffd
	v_add_co_ci_u32_e32 v3, vcc_lo, s5, v1, vcc_lo
	global_load_b64 v[0:1], v[0:1], off
	s_wait_loadcnt 0x0
	v_mul_f32_e32 v4, v0, v16
	s_delay_alu instid0(VALU_DEP_1) | instskip(SKIP_1) | instid1(VALU_DEP_1)
	v_fma_f32 v5, v1, v15, -v4
	v_mul_f32_e32 v4, v1, v16
	v_fmac_f32_e32 v4, v0, v15
	v_add_co_u32 v0, vcc_lo, v2, s2
	s_wait_alu 0xfffd
	v_add_co_ci_u32_e32 v1, vcc_lo, s3, v3, vcc_lo
	global_load_b64 v[2:3], v[2:3], off
	global_load_b64 v[6:7], v[0:1], off
	v_add_co_u32 v0, vcc_lo, v0, s4
	s_wait_alu 0xfffd
	v_add_co_ci_u32_e32 v1, vcc_lo, s5, v1, vcc_lo
	s_load_b128 s[4:7], s[6:7], 0x0
	s_wait_loadcnt 0x0
	v_mul_f32_e32 v8, v6, v10
	s_delay_alu instid0(VALU_DEP_1) | instskip(SKIP_1) | instid1(VALU_DEP_1)
	v_fma_f32 v8, v7, v9, -v8
	v_mul_f32_e32 v7, v7, v10
	v_fmac_f32_e32 v7, v6, v9
	ds_store_2addr_b64 v66, v[4:5], v[7:8] offset0:43 offset1:106
	global_load_b64 v[5:6], v[0:1], off
	v_add_co_u32 v0, vcc_lo, v0, s2
	s_wait_alu 0xfffd
	v_add_co_ci_u32_e32 v1, vcc_lo, s3, v1, vcc_lo
	v_mul_f32_e32 v4, v2, v18
	v_add_co_u32 v78, s2, v172, 63
	global_load_b64 v[0:1], v[0:1], off
	s_wait_alu 0xf1ff
	v_add_co_ci_u32_e64 v79, null, 0, 0, s2
	v_fma_f32 v4, v3, v17, -v4
	v_mul_f32_e32 v3, v3, v18
	v_and_b32_e32 v54, 1, v78
	v_cmp_gt_u16_e32 vcc_lo, 9, v64
	s_wait_loadcnt 0x1
	s_delay_alu instid0(VALU_DEP_3) | instskip(NEXT) | instid1(VALU_DEP_1)
	v_dual_fmac_f32 v3, v2, v17 :: v_dual_mul_f32 v2, v5, v12
	v_fma_f32 v7, v6, v11, -v2
	v_mul_f32_e32 v6, v6, v12
	s_wait_loadcnt 0x0
	v_mul_f32_e32 v2, v0, v14
	s_delay_alu instid0(VALU_DEP_2) | instskip(NEXT) | instid1(VALU_DEP_2)
	v_fmac_f32_e32 v6, v5, v11
	v_fma_f32 v2, v1, v13, -v2
	v_mul_f32_e32 v1, v1, v14
	ds_store_2addr_b64 v67, v[3:4], v[6:7] offset0:118 offset1:181
	v_fmac_f32_e32 v1, v0, v13
	ds_store_b64 v251, v[1:2] offset:11592
	global_wb scope:SCOPE_SE
	s_wait_storecnt_dscnt 0x0
	s_wait_kmcnt 0x0
	s_barrier_signal -1
	s_barrier_wait -1
	global_inv scope:SCOPE_SE
	ds_load_2addr_b64 v[28:31], v251 offset1:63
	ds_load_2addr_b64 v[0:3], v77 offset0:116 offset1:179
	s_wait_dscnt 0x0
	v_dual_sub_f32 v46, v28, v0 :: v_dual_sub_f32 v47, v29, v1
	v_dual_sub_f32 v6, v30, v2 :: v_dual_sub_f32 v7, v31, v3
	ds_load_2addr_b64 v[32:35], v251 offset0:126 offset1:189
	ds_load_2addr_b64 v[0:3], v65 offset0:114 offset1:177
	;; [unrolled: 1-line block ×4, first 2 shown]
	v_fma_f32 v44, v28, 2.0, -v46
	v_fma_f32 v45, v29, 2.0, -v47
	;; [unrolled: 1-line block ×4, first 2 shown]
	s_wait_dscnt 0x0
	v_dual_sub_f32 v19, v33, v1 :: v_dual_sub_f32 v26, v36, v8
	v_dual_sub_f32 v27, v37, v9 :: v_dual_sub_f32 v14, v38, v10
	v_sub_f32_e32 v15, v39, v11
	ds_load_2addr_b64 v[40:43], v168 offset0:122 offset1:185
	ds_load_2addr_b64 v[8:11], v76 offset0:110 offset1:173
	v_sub_f32_e32 v18, v32, v0
	v_dual_sub_f32 v2, v34, v2 :: v_dual_sub_f32 v3, v35, v3
	v_fma_f32 v17, v33, 2.0, -v19
	v_fma_f32 v24, v36, 2.0, -v26
	s_delay_alu instid0(VALU_DEP_4) | instskip(NEXT) | instid1(VALU_DEP_4)
	v_fma_f32 v16, v32, 2.0, -v18
	v_fma_f32 v0, v34, 2.0, -v2
	;; [unrolled: 1-line block ×6, first 2 shown]
	s_wait_dscnt 0x0
	v_dual_sub_f32 v22, v40, v8 :: v_dual_sub_f32 v23, v41, v9
	v_dual_sub_f32 v10, v42, v10 :: v_dual_sub_f32 v11, v43, v11
	s_delay_alu instid0(VALU_DEP_2) | instskip(NEXT) | instid1(VALU_DEP_3)
	v_fma_f32 v20, v40, 2.0, -v22
	v_fma_f32 v21, v41, 2.0, -v23
	s_delay_alu instid0(VALU_DEP_3) | instskip(NEXT) | instid1(VALU_DEP_4)
	v_fma_f32 v8, v42, 2.0, -v10
	v_fma_f32 v9, v43, 2.0, -v11
	ds_load_2addr_b64 v[32:35], v75 offset0:120 offset1:183
	ds_load_2addr_b64 v[40:43], v74 offset0:108 offset1:171
	;; [unrolled: 1-line block ×4, first 2 shown]
	global_wb scope:SCOPE_SE
	s_wait_dscnt 0x0
	s_barrier_signal -1
	s_barrier_wait -1
	global_inv scope:SCOPE_SE
	ds_store_b128 v151, v[44:47]
	v_lshlrev_b32_e32 v44, 4, v78
	ds_store_b128 v44, v[4:7]
	v_add_co_u32 v4, null, 0x7e, v172
	s_delay_alu instid0(VALU_DEP_1)
	v_lshlrev_b32_e32 v5, 4, v4
	v_and_b32_e32 v71, 3, v4
	v_sub_f32_e32 v7, v28, v36
	scratch_store_b32 off, v5, off offset:436 ; 4-byte Folded Spill
	ds_store_b128 v5, v[16:19]
	v_lshlrev_b32_e32 v5, 4, v178
	v_add_co_u32 v19, null, 0xfc, v172
	v_add_co_u32 v18, null, 0x13b, v172
	ds_store_b128 v5, v[0:3]
	v_lshlrev_b32_e32 v0, 4, v19
	v_add_co_u32 v17, null, 0x17a, v172
	v_add_co_u32 v16, null, 0x1b9, v172
	scratch_store_b32 off, v0, off offset:428 ; 4-byte Folded Spill
	ds_store_b128 v0, v[24:27]
	v_lshlrev_b32_e32 v0, 4, v18
	v_dual_sub_f32 v2, v32, v40 :: v_dual_sub_f32 v3, v33, v41
	v_and_b32_e32 v59, 1, v16
	v_lshlrev_b32_e32 v63, 1, v18
	scratch_store_b32 off, v0, off offset:424 ; 4-byte Folded Spill
	ds_store_b128 v0, v[12:15]
	v_lshlrev_b32_e32 v0, 4, v17
	scratch_store_b32 off, v44, off offset:440 ; 4-byte Folded Spill
	v_lshlrev_b32_e32 v15, 1, v172
	v_fma_f32 v1, v33, 2.0, -v3
	v_sub_f32_e32 v12, v31, v39
	scratch_store_b32 off, v0, off offset:420 ; 4-byte Folded Spill
	ds_store_b128 v0, v[20:23]
	v_lshlrev_b32_e32 v0, 4, v16
	scratch_store_b32 off, v5, off offset:432 ; 4-byte Folded Spill
	v_lshlrev_b32_e32 v5, 3, v15
	v_lshlrev_b32_e32 v68, 1, v16
	v_add_nc_u32_e32 v86, 0x3f0, v15
	scratch_store_b32 off, v0, off offset:416 ; 4-byte Folded Spill
	ds_store_b128 v0, v[8:11]
	v_fma_f32 v0, v32, 2.0, -v2
	v_dual_sub_f32 v8, v29, v37 :: v_dual_sub_f32 v11, v30, v38
	v_fma_f32 v10, v31, 2.0, -v12
	v_and_b32_e32 v82, 3, v17
	ds_store_b128 v5, v[0:3] offset:8064
	v_dual_sub_f32 v2, v34, v42 :: v_dual_sub_f32 v3, v35, v43
	v_fma_f32 v5, v28, 2.0, -v7
	v_fma_f32 v6, v29, 2.0, -v8
	;; [unrolled: 1-line block ×3, first 2 shown]
	s_delay_alu instid0(VALU_DEP_4)
	v_fma_f32 v0, v34, 2.0, -v2
	v_fma_f32 v1, v35, 2.0, -v3
	ds_store_b128 v151, v[0:3] offset:9072
	ds_store_b128 v151, v[5:8] offset:10080
	ds_store_b128 v151, v[9:12] offset:11088
	v_lshlrev_b32_e32 v0, 3, v54
	global_wb scope:SCOPE_SE
	s_wait_storecnt_dscnt 0x0
	s_barrier_signal -1
	s_barrier_wait -1
	global_inv scope:SCOPE_SE
	global_load_b32 v176, v0, s[10:11]
	v_lshlrev_b32_e32 v0, 3, v55
	v_lshlrev_b32_e32 v1, 3, v56
	s_clause 0x2
	global_load_b32 v177, v0, s[10:11] offset:4
	global_load_b64 v[235:236], v0, s[10:11]
	global_load_b64 v[237:238], v1, s[10:11]
	ds_load_2addr_b64 v[0:3], v77 offset0:116 offset1:179
	v_and_b32_e32 v89, 0xffff, v19
	v_and_b32_e32 v91, 0xffff, v18
	;; [unrolled: 1-line block ×4, first 2 shown]
	s_wait_loadcnt_dscnt 0x0
	v_dual_mul_f32 v8, v2, v236 :: v_dual_mul_f32 v5, v1, v238
	v_mul_f32_e32 v6, v0, v238
	s_delay_alu instid0(VALU_DEP_2) | instskip(SKIP_1) | instid1(VALU_DEP_3)
	v_fma_f32 v5, v0, v237, -v5
	v_mul_f32_e32 v0, v3, v236
	v_fmac_f32_e32 v6, v1, v237
	v_fmac_f32_e32 v8, v3, v176
	s_delay_alu instid0(VALU_DEP_3) | instskip(SKIP_4) | instid1(VALU_DEP_2)
	v_fma_f32 v7, v2, v176, -v0
	ds_load_2addr_b64 v[0:3], v65 offset0:114 offset1:177
	s_wait_dscnt 0x0
	v_mul_f32_e32 v9, v1, v238
	v_mul_f32_e32 v14, v0, v238
	v_fma_f32 v13, v0, v237, -v9
	v_lshlrev_b32_e32 v0, 3, v57
	v_and_b32_e32 v58, 1, v18
	s_delay_alu instid0(VALU_DEP_4)
	v_fmac_f32_e32 v14, v1, v237
	global_load_b64 v[245:246], v0, s[10:11]
	v_lshlrev_b32_e32 v0, 3, v58
	global_load_b64 v[243:244], v0, s[10:11]
	v_lshlrev_b32_e32 v0, 3, v59
	global_load_b64 v[241:242], v0, s[10:11]
	v_lshlrev_b32_e32 v0, 3, v60
	global_load_b64 v[239:240], v0, s[10:11]
	s_wait_loadcnt 0x3
	v_mul_f32_e32 v0, v3, v246
	v_mul_f32_e32 v21, v2, v246
	s_delay_alu instid0(VALU_DEP_2) | instskip(NEXT) | instid1(VALU_DEP_2)
	v_fma_f32 v20, v2, v245, -v0
	v_fmac_f32_e32 v21, v3, v245
	ds_load_2addr_b64 v[0:3], v72 offset0:112 offset1:175
	s_wait_dscnt 0x0
	v_mul_f32_e32 v9, v1, v238
	v_mul_f32_e32 v27, v0, v238
	s_wait_loadcnt 0x2
	v_mul_f32_e32 v29, v2, v244
	s_delay_alu instid0(VALU_DEP_3) | instskip(NEXT) | instid1(VALU_DEP_3)
	v_fma_f32 v26, v0, v237, -v9
	v_dual_mul_f32 v0, v3, v244 :: v_dual_fmac_f32 v27, v1, v237
	s_delay_alu instid0(VALU_DEP_3) | instskip(NEXT) | instid1(VALU_DEP_2)
	v_fmac_f32_e32 v29, v3, v243
	v_fma_f32 v28, v2, v243, -v0
	ds_load_2addr_b64 v[0:3], v76 offset0:110 offset1:173
	s_wait_dscnt 0x0
	v_mul_f32_e32 v9, v1, v238
	v_mul_f32_e32 v35, v0, v238
	s_wait_loadcnt 0x1
	v_mul_f32_e32 v37, v2, v242
	s_delay_alu instid0(VALU_DEP_3) | instskip(NEXT) | instid1(VALU_DEP_3)
	v_fma_f32 v34, v0, v237, -v9
	v_dual_mul_f32 v0, v3, v242 :: v_dual_fmac_f32 v35, v1, v237
	s_delay_alu instid0(VALU_DEP_3) | instskip(NEXT) | instid1(VALU_DEP_2)
	v_fmac_f32_e32 v37, v3, v241
	v_fma_f32 v36, v2, v241, -v0
	;; [unrolled: 12-line block ×3, first 2 shown]
	ds_load_2addr_b64 v[0:3], v66 offset0:106 offset1:169
	s_wait_dscnt 0x0
	v_mul_f32_e32 v9, v1, v238
	v_mul_f32_e32 v51, v0, v238
	;; [unrolled: 1-line block ×3, first 2 shown]
	v_and_or_b32 v61, 0x7c, v15, v56
	s_delay_alu instid0(VALU_DEP_4) | instskip(SKIP_4) | instid1(VALU_DEP_4)
	v_fma_f32 v50, v0, v237, -v9
	v_mul_f32_e32 v0, v3, v177
	v_fmac_f32_e32 v51, v1, v237
	v_fmac_f32_e32 v53, v3, v235
	v_lshlrev_b32_e32 v61, 3, v61
	v_fma_f32 v52, v2, v235, -v0
	ds_load_2addr_b64 v[0:3], v251 offset1:63
	s_wait_dscnt 0x0
	v_dual_sub_f32 v5, v0, v5 :: v_dual_sub_f32 v6, v1, v6
	v_dual_sub_f32 v7, v2, v7 :: v_dual_sub_f32 v8, v3, v8
	s_delay_alu instid0(VALU_DEP_2) | instskip(NEXT) | instid1(VALU_DEP_3)
	v_fma_f32 v9, v0, 2.0, -v5
	v_fma_f32 v10, v1, 2.0, -v6
	s_delay_alu instid0(VALU_DEP_3) | instskip(NEXT) | instid1(VALU_DEP_4)
	v_fma_f32 v11, v2, 2.0, -v7
	v_fma_f32 v12, v3, 2.0, -v8
	ds_load_2addr_b64 v[0:3], v251 offset0:126 offset1:189
	s_wait_dscnt 0x0
	v_dual_sub_f32 v13, v0, v13 :: v_dual_sub_f32 v14, v1, v14
	v_dual_sub_f32 v20, v2, v20 :: v_dual_sub_f32 v21, v3, v21
	s_delay_alu instid0(VALU_DEP_2) | instskip(NEXT) | instid1(VALU_DEP_3)
	v_fma_f32 v22, v0, 2.0, -v13
	v_fma_f32 v23, v1, 2.0, -v14
	s_delay_alu instid0(VALU_DEP_3) | instskip(NEXT) | instid1(VALU_DEP_4)
	v_fma_f32 v24, v2, 2.0, -v20
	v_fma_f32 v25, v3, 2.0, -v21
	ds_load_2addr_b64 v[0:3], v73 offset0:124 offset1:187
	s_wait_dscnt 0x0
	v_dual_sub_f32 v26, v0, v26 :: v_dual_sub_f32 v27, v1, v27
	v_dual_sub_f32 v28, v2, v28 :: v_dual_sub_f32 v29, v3, v29
	s_delay_alu instid0(VALU_DEP_2) | instskip(NEXT) | instid1(VALU_DEP_3)
	v_fma_f32 v30, v0, 2.0, -v26
	v_fma_f32 v31, v1, 2.0, -v27
	s_delay_alu instid0(VALU_DEP_3) | instskip(NEXT) | instid1(VALU_DEP_4)
	v_fma_f32 v32, v2, 2.0, -v28
	v_fma_f32 v33, v3, 2.0, -v29
	ds_load_2addr_b64 v[0:3], v168 offset0:122 offset1:185
	s_wait_dscnt 0x0
	v_dual_sub_f32 v34, v0, v34 :: v_dual_sub_f32 v35, v1, v35
	v_dual_sub_f32 v36, v2, v36 :: v_dual_sub_f32 v37, v3, v37
	s_delay_alu instid0(VALU_DEP_2) | instskip(NEXT) | instid1(VALU_DEP_3)
	v_fma_f32 v38, v0, 2.0, -v34
	v_fma_f32 v39, v1, 2.0, -v35
	s_delay_alu instid0(VALU_DEP_3) | instskip(NEXT) | instid1(VALU_DEP_4)
	v_fma_f32 v40, v2, 2.0, -v36
	v_fma_f32 v41, v3, 2.0, -v37
	ds_load_2addr_b64 v[0:3], v75 offset0:120 offset1:183
	s_wait_dscnt 0x0
	v_dual_sub_f32 v42, v0, v42 :: v_dual_sub_f32 v43, v1, v43
	v_dual_sub_f32 v44, v2, v44 :: v_dual_sub_f32 v45, v3, v45
	s_delay_alu instid0(VALU_DEP_2) | instskip(NEXT) | instid1(VALU_DEP_3)
	v_fma_f32 v46, v0, 2.0, -v42
	v_fma_f32 v47, v1, 2.0, -v43
	s_delay_alu instid0(VALU_DEP_3) | instskip(NEXT) | instid1(VALU_DEP_4)
	v_fma_f32 v48, v2, 2.0, -v44
	v_fma_f32 v49, v3, 2.0, -v45
	ds_load_2addr_b64 v[0:3], v67 offset0:118 offset1:181
	global_wb scope:SCOPE_SE
	s_wait_dscnt 0x0
	s_barrier_signal -1
	s_barrier_wait -1
	global_inv scope:SCOPE_SE
	scratch_store_b32 off, v61, off offset:412 ; 4-byte Folded Spill
	ds_store_2addr_b64 v61, v[9:10], v[5:6] offset1:2
	v_lshlrev_b32_e32 v61, 1, v78
	s_delay_alu instid0(VALU_DEP_1) | instskip(SKIP_1) | instid1(VALU_DEP_2)
	v_and_or_b32 v5, 0xfc, v61, v54
	v_lshlrev_b32_e32 v54, 1, v4
	v_lshlrev_b32_e32 v5, 3, v5
	v_sub_f32_e32 v53, v3, v53
	v_sub_f32_e32 v51, v1, v51
	scratch_store_b32 off, v5, off offset:408 ; 4-byte Folded Spill
	ds_store_2addr_b64 v5, v[11:12], v[7:8] offset1:2
	v_and_or_b32 v5, 0x1fc, v54, v56
	v_fma_f32 v3, v3, 2.0, -v53
	v_fma_f32 v1, v1, 2.0, -v51
	s_delay_alu instid0(VALU_DEP_3)
	v_lshlrev_b32_e32 v5, 3, v5
	scratch_store_b32 off, v5, off offset:404 ; 4-byte Folded Spill
	ds_store_2addr_b64 v5, v[22:23], v[13:14] offset1:2
	v_and_or_b32 v5, 0x1fc, v62, v57
	v_lshlrev_b32_e32 v57, 1, v19
	v_add_nc_u32_e32 v13, 0x276, v172
	s_delay_alu instid0(VALU_DEP_3) | instskip(SKIP_3) | instid1(VALU_DEP_1)
	v_lshlrev_b32_e32 v5, 3, v5
	scratch_store_b32 off, v5, off offset:400 ; 4-byte Folded Spill
	ds_store_2addr_b64 v5, v[24:25], v[20:21] offset1:2
	v_and_or_b32 v5, 0x3fc, v57, v56
	v_lshlrev_b32_e32 v5, 3, v5
	scratch_store_b32 off, v5, off offset:396 ; 4-byte Folded Spill
	ds_store_2addr_b64 v5, v[30:31], v[26:27] offset1:2
	v_and_or_b32 v5, 0x2fc, v63, v58
	v_lshlrev_b32_e32 v58, 1, v17
	s_delay_alu instid0(VALU_DEP_2) | instskip(SKIP_3) | instid1(VALU_DEP_1)
	v_lshlrev_b32_e32 v5, 3, v5
	scratch_store_b32 off, v5, off offset:392 ; 4-byte Folded Spill
	ds_store_2addr_b64 v5, v[32:33], v[28:29] offset1:2
	v_and_or_b32 v5, 0x3fc, v58, v56
	v_lshlrev_b32_e32 v5, 3, v5
	scratch_store_b32 off, v5, off offset:388 ; 4-byte Folded Spill
	ds_store_2addr_b64 v5, v[38:39], v[34:35] offset1:2
	v_and_or_b32 v5, 0x3fc, v68, v59
	v_lshlrev_b32_e32 v59, 1, v69
	s_delay_alu instid0(VALU_DEP_2) | instskip(SKIP_3) | instid1(VALU_DEP_1)
	v_lshlrev_b32_e32 v5, 3, v5
	scratch_store_b32 off, v5, off offset:384 ; 4-byte Folded Spill
	ds_store_2addr_b64 v5, v[40:41], v[36:37] offset1:2
	v_and_or_b32 v5, 0x7fc, v86, v56
	v_lshlrev_b32_e32 v5, 3, v5
	scratch_store_b32 off, v5, off offset:380 ; 4-byte Folded Spill
	ds_store_2addr_b64 v5, v[46:47], v[42:43] offset1:2
	v_and_or_b32 v5, 0x4fc, v59, v60
	v_sub_f32_e32 v50, v0, v50
	v_lshlrev_b32_e32 v60, 1, v13
	s_delay_alu instid0(VALU_DEP_3) | instskip(NEXT) | instid1(VALU_DEP_3)
	v_lshlrev_b32_e32 v5, 3, v5
	v_fma_f32 v0, v0, 2.0, -v50
	scratch_store_b32 off, v5, off offset:376 ; 4-byte Folded Spill
	ds_store_2addr_b64 v5, v[48:49], v[44:45] offset1:2
	v_and_or_b32 v5, 0x5fc, v60, v56
	v_sub_f32_e32 v52, v2, v52
	v_lshlrev_b32_e32 v56, 1, v83
	s_delay_alu instid0(VALU_DEP_3) | instskip(NEXT) | instid1(VALU_DEP_3)
	v_lshlrev_b32_e32 v5, 3, v5
	v_fma_f32 v2, v2, 2.0, -v52
	ds_store_2addr_b64 v5, v[0:1], v[50:51] offset1:2
	v_and_or_b32 v0, 0x5fc, v56, v55
	v_and_b32_e32 v55, 3, v78
	s_delay_alu instid0(VALU_DEP_2)
	v_lshlrev_b32_e32 v0, 3, v0
	s_clause 0x1
	scratch_store_b32 off, v5, off offset:372
	scratch_store_b32 off, v0, off offset:368
	ds_store_2addr_b64 v0, v[2:3], v[52:53] offset1:2
	global_wb scope:SCOPE_SE
	s_wait_storecnt_dscnt 0x0
	s_barrier_signal -1
	s_barrier_wait -1
	global_inv scope:SCOPE_SE
	v_lshlrev_b32_e32 v0, 3, v55
	scratch_store_b32 off, v69, off offset:448 ; 4-byte Folded Spill
	v_and_b32_e32 v69, 3, v69
	global_load_b32 v9, v0, s[10:11] offset:16
	v_lshlrev_b32_e32 v1, 3, v70
	v_lshlrev_b32_e32 v0, 3, v69
	s_clause 0x2
	global_load_b32 v12, v0, s[10:11] offset:20
	global_load_b64 v[221:222], v0, s[10:11] offset:16
	global_load_b64 v[223:224], v1, s[10:11] offset:16
	ds_load_2addr_b64 v[0:3], v77 offset0:116 offset1:179
	v_and_b32_e32 v84, 3, v18
	s_wait_loadcnt_dscnt 0x0
	v_dual_mul_f32 v8, v2, v222 :: v_dual_mul_f32 v5, v1, v224
	v_mul_f32_e32 v6, v0, v224
	s_delay_alu instid0(VALU_DEP_2) | instskip(NEXT) | instid1(VALU_DEP_3)
	v_fmac_f32_e32 v8, v3, v9
	v_fma_f32 v5, v0, v223, -v5
	v_mul_f32_e32 v0, v3, v222
	s_delay_alu instid0(VALU_DEP_4)
	v_dual_fmac_f32 v6, v1, v223 :: v_dual_and_b32 v81, 3, v13
	s_clause 0x1
	scratch_store_b32 off, v9, off offset:316
	scratch_store_b32 off, v13, off offset:456
	v_fma_f32 v7, v2, v9, -v0
	v_lshlrev_b32_e32 v0, 3, v71
	global_load_b32 v10, v0, s[10:11] offset:16
	v_lshlrev_b32_e32 v0, 3, v80
	global_load_b32 v11, v0, s[10:11] offset:16
	v_lshlrev_b32_e32 v0, 3, v81
	s_clause 0x1
	global_load_b32 v22, v0, s[10:11] offset:20
	global_load_b64 v[225:226], v0, s[10:11] offset:16
	ds_load_2addr_b64 v[0:3], v65 offset0:114 offset1:177
	scratch_store_b32 off, v83, off offset:444 ; 4-byte Folded Spill
	v_and_b32_e32 v83, 3, v83
	s_wait_loadcnt 0x3
	scratch_store_b32 off, v10, off offset:324 ; 4-byte Folded Spill
	s_wait_loadcnt_dscnt 0x0
	v_mul_f32_e32 v14, v0, v226
	v_mul_f32_e32 v9, v1, v226
	s_delay_alu instid0(VALU_DEP_2) | instskip(NEXT) | instid1(VALU_DEP_2)
	v_fmac_f32_e32 v14, v1, v10
	v_fma_f32 v13, v0, v10, -v9
	v_lshlrev_b32_e32 v0, 3, v82
	v_lshlrev_b32_e32 v1, 3, v83
	s_clause 0x2
	global_load_b64 v[229:230], v0, s[10:11] offset:16
	global_load_b32 v175, v1, s[10:11] offset:20
	global_load_b64 v[227:228], v1, s[10:11] offset:16
	s_clause 0x2
	scratch_store_b32 off, v11, off offset:328
	scratch_store_b32 off, v12, off offset:344
	;; [unrolled: 1-line block ×3, first 2 shown]
	s_wait_loadcnt 0x0
	v_mul_f32_e32 v0, v3, v228
	v_mul_f32_e32 v21, v2, v228
	s_delay_alu instid0(VALU_DEP_2) | instskip(NEXT) | instid1(VALU_DEP_2)
	v_fma_f32 v20, v2, v11, -v0
	v_fmac_f32_e32 v21, v3, v11
	ds_load_2addr_b64 v[0:3], v72 offset0:112 offset1:175
	s_wait_dscnt 0x0
	v_mul_f32_e32 v9, v1, v224
	v_mul_f32_e32 v27, v0, v224
	s_delay_alu instid0(VALU_DEP_2) | instskip(NEXT) | instid1(VALU_DEP_2)
	v_fma_f32 v26, v0, v223, -v9
	v_dual_fmac_f32 v27, v1, v223 :: v_dual_lshlrev_b32 v0, 3, v84
	global_load_b64 v[231:232], v0, s[10:11] offset:16
	s_wait_loadcnt 0x0
	v_mul_f32_e32 v0, v3, v232
	v_mul_f32_e32 v29, v2, v232
	s_delay_alu instid0(VALU_DEP_2) | instskip(NEXT) | instid1(VALU_DEP_2)
	v_fma_f32 v28, v2, v231, -v0
	v_fmac_f32_e32 v29, v3, v231
	ds_load_2addr_b64 v[0:3], v76 offset0:110 offset1:173
	v_and_b32_e32 v85, 3, v16
	v_and_or_b32 v15, 0x78, v15, v70
	s_delay_alu instid0(VALU_DEP_1) | instskip(SKIP_3) | instid1(VALU_DEP_2)
	v_lshlrev_b32_e32 v15, 3, v15
	s_wait_dscnt 0x0
	v_mul_f32_e32 v9, v1, v230
	v_mul_f32_e32 v35, v0, v230
	v_fma_f32 v34, v0, v229, -v9
	v_lshlrev_b32_e32 v0, 3, v85
	s_delay_alu instid0(VALU_DEP_3) | instskip(SKIP_4) | instid1(VALU_DEP_2)
	v_fmac_f32_e32 v35, v1, v229
	global_load_b64 v[233:234], v0, s[10:11] offset:16
	s_wait_loadcnt 0x0
	v_mul_f32_e32 v0, v3, v234
	v_mul_f32_e32 v37, v2, v234
	v_fma_f32 v36, v2, v233, -v0
	s_delay_alu instid0(VALU_DEP_2)
	v_fmac_f32_e32 v37, v3, v233
	ds_load_2addr_b64 v[0:3], v74 offset0:108 offset1:171
	s_wait_dscnt 0x0
	v_mul_f32_e32 v9, v1, v224
	v_mul_f32_e32 v43, v0, v224
	;; [unrolled: 1-line block ×3, first 2 shown]
	s_delay_alu instid0(VALU_DEP_3) | instskip(NEXT) | instid1(VALU_DEP_3)
	v_fma_f32 v42, v0, v223, -v9
	v_dual_mul_f32 v0, v3, v12 :: v_dual_fmac_f32 v43, v1, v223
	s_delay_alu instid0(VALU_DEP_3) | instskip(NEXT) | instid1(VALU_DEP_2)
	v_fmac_f32_e32 v45, v3, v221
	v_fma_f32 v44, v2, v221, -v0
	ds_load_2addr_b64 v[0:3], v66 offset0:106 offset1:169
	s_wait_dscnt 0x0
	v_mul_f32_e32 v9, v1, v22
	v_mul_f32_e32 v51, v0, v22
	;; [unrolled: 1-line block ×3, first 2 shown]
	s_delay_alu instid0(VALU_DEP_3) | instskip(NEXT) | instid1(VALU_DEP_3)
	v_fma_f32 v50, v0, v225, -v9
	v_dual_mul_f32 v0, v3, v175 :: v_dual_fmac_f32 v51, v1, v225
	s_delay_alu instid0(VALU_DEP_3) | instskip(NEXT) | instid1(VALU_DEP_2)
	v_fmac_f32_e32 v53, v3, v227
	v_fma_f32 v52, v2, v227, -v0
	ds_load_2addr_b64 v[0:3], v251 offset1:63
	s_wait_dscnt 0x0
	v_dual_sub_f32 v6, v1, v6 :: v_dual_sub_f32 v5, v0, v5
	v_dual_sub_f32 v8, v3, v8 :: v_dual_sub_f32 v7, v2, v7
	s_delay_alu instid0(VALU_DEP_2) | instskip(NEXT) | instid1(VALU_DEP_3)
	v_fma_f32 v10, v1, 2.0, -v6
	v_fma_f32 v9, v0, 2.0, -v5
	s_delay_alu instid0(VALU_DEP_3) | instskip(NEXT) | instid1(VALU_DEP_4)
	v_fma_f32 v12, v3, 2.0, -v8
	v_fma_f32 v11, v2, 2.0, -v7
	ds_load_2addr_b64 v[0:3], v251 offset0:126 offset1:189
	s_wait_dscnt 0x0
	v_dual_sub_f32 v14, v1, v14 :: v_dual_sub_f32 v13, v0, v13
	v_dual_sub_f32 v20, v2, v20 :: v_dual_sub_f32 v21, v3, v21
	s_delay_alu instid0(VALU_DEP_2) | instskip(NEXT) | instid1(VALU_DEP_3)
	v_fma_f32 v23, v1, 2.0, -v14
	v_fma_f32 v22, v0, 2.0, -v13
	s_delay_alu instid0(VALU_DEP_3) | instskip(NEXT) | instid1(VALU_DEP_4)
	v_fma_f32 v24, v2, 2.0, -v20
	v_fma_f32 v25, v3, 2.0, -v21
	ds_load_2addr_b64 v[0:3], v73 offset0:124 offset1:187
	s_wait_dscnt 0x0
	v_dual_sub_f32 v26, v0, v26 :: v_dual_sub_f32 v27, v1, v27
	v_dual_sub_f32 v28, v2, v28 :: v_dual_sub_f32 v29, v3, v29
	s_delay_alu instid0(VALU_DEP_2) | instskip(NEXT) | instid1(VALU_DEP_3)
	v_fma_f32 v30, v0, 2.0, -v26
	v_fma_f32 v31, v1, 2.0, -v27
	s_delay_alu instid0(VALU_DEP_3) | instskip(NEXT) | instid1(VALU_DEP_4)
	v_fma_f32 v32, v2, 2.0, -v28
	v_fma_f32 v33, v3, 2.0, -v29
	ds_load_2addr_b64 v[0:3], v168 offset0:122 offset1:185
	s_wait_dscnt 0x0
	v_dual_sub_f32 v34, v0, v34 :: v_dual_sub_f32 v35, v1, v35
	v_dual_sub_f32 v36, v2, v36 :: v_dual_sub_f32 v37, v3, v37
	s_delay_alu instid0(VALU_DEP_2) | instskip(NEXT) | instid1(VALU_DEP_3)
	v_fma_f32 v38, v0, 2.0, -v34
	v_fma_f32 v39, v1, 2.0, -v35
	s_delay_alu instid0(VALU_DEP_3) | instskip(NEXT) | instid1(VALU_DEP_4)
	v_fma_f32 v40, v2, 2.0, -v36
	v_fma_f32 v41, v3, 2.0, -v37
	ds_load_2addr_b64 v[0:3], v75 offset0:120 offset1:183
	s_wait_dscnt 0x0
	v_dual_sub_f32 v42, v0, v42 :: v_dual_sub_f32 v43, v1, v43
	v_dual_sub_f32 v44, v2, v44 :: v_dual_sub_f32 v45, v3, v45
	s_delay_alu instid0(VALU_DEP_2) | instskip(NEXT) | instid1(VALU_DEP_3)
	v_fma_f32 v46, v0, 2.0, -v42
	v_fma_f32 v47, v1, 2.0, -v43
	s_delay_alu instid0(VALU_DEP_3) | instskip(NEXT) | instid1(VALU_DEP_4)
	v_fma_f32 v48, v2, 2.0, -v44
	v_fma_f32 v49, v3, 2.0, -v45
	ds_load_2addr_b64 v[0:3], v67 offset0:118 offset1:181
	global_wb scope:SCOPE_SE
	s_wait_storecnt_dscnt 0x0
	s_barrier_signal -1
	s_barrier_wait -1
	global_inv scope:SCOPE_SE
	ds_store_2addr_b64 v15, v[9:10], v[5:6] offset1:4
	v_and_or_b32 v5, 0xf8, v61, v55
	s_delay_alu instid0(VALU_DEP_1) | instskip(SKIP_4) | instid1(VALU_DEP_2)
	v_lshlrev_b32_e32 v5, 3, v5
	scratch_store_b32 off, v5, off offset:360 ; 4-byte Folded Spill
	ds_store_2addr_b64 v5, v[11:12], v[7:8] offset1:4
	v_and_or_b32 v5, 0x1f8, v54, v71
	v_dual_sub_f32 v50, v0, v50 :: v_dual_sub_f32 v51, v1, v51
	v_dual_sub_f32 v52, v2, v52 :: v_dual_lshlrev_b32 v5, 3, v5
	s_delay_alu instid0(VALU_DEP_2) | instskip(NEXT) | instid1(VALU_DEP_3)
	v_fma_f32 v0, v0, 2.0, -v50
	v_fma_f32 v1, v1, 2.0, -v51
	s_delay_alu instid0(VALU_DEP_3) | instskip(SKIP_3) | instid1(VALU_DEP_1)
	v_fma_f32 v2, v2, 2.0, -v52
	scratch_store_b32 off, v5, off offset:356 ; 4-byte Folded Spill
	ds_store_2addr_b64 v5, v[22:23], v[13:14] offset1:4
	v_and_or_b32 v5, 0x1f8, v62, v80
	v_lshlrev_b32_e32 v5, 3, v5
	scratch_store_b32 off, v5, off offset:352 ; 4-byte Folded Spill
	ds_store_2addr_b64 v5, v[24:25], v[20:21] offset1:4
	v_and_or_b32 v5, 0x3f8, v57, v70
	s_delay_alu instid0(VALU_DEP_1)
	v_lshlrev_b32_e32 v5, 3, v5
	scratch_store_b32 off, v5, off offset:340 ; 4-byte Folded Spill
	ds_store_2addr_b64 v5, v[30:31], v[26:27] offset1:4
	v_and_or_b32 v5, 0x2f8, v63, v84
	v_and_b32_e32 v30, 7, v4
	v_and_b32_e32 v31, 7, v178
	s_delay_alu instid0(VALU_DEP_3) | instskip(SKIP_3) | instid1(VALU_DEP_1)
	v_lshlrev_b32_e32 v5, 3, v5
	scratch_store_b32 off, v5, off offset:336 ; 4-byte Folded Spill
	ds_store_2addr_b64 v5, v[32:33], v[28:29] offset1:4
	v_and_or_b32 v5, 0x3f8, v58, v82
	v_lshlrev_b32_e32 v5, 3, v5
	scratch_store_b32 off, v5, off offset:332 ; 4-byte Folded Spill
	ds_store_2addr_b64 v5, v[38:39], v[34:35] offset1:4
	v_and_or_b32 v5, 0x3f8, v68, v85
	s_delay_alu instid0(VALU_DEP_1) | instskip(SKIP_4) | instid1(VALU_DEP_2)
	v_lshlrev_b32_e32 v5, 3, v5
	scratch_store_b32 off, v5, off offset:320 ; 4-byte Folded Spill
	ds_store_2addr_b64 v5, v[40:41], v[36:37] offset1:4
	v_and_or_b32 v5, 0x7f8, v86, v70
	v_and_b32_e32 v40, 7, v19
	v_lshlrev_b32_e32 v5, 3, v5
	scratch_store_b32 off, v5, off offset:312 ; 4-byte Folded Spill
	ds_store_2addr_b64 v5, v[46:47], v[42:43] offset1:4
	v_and_or_b32 v5, 0x4f8, v59, v69
	s_delay_alu instid0(VALU_DEP_1)
	v_lshlrev_b32_e32 v5, 3, v5
	s_clause 0x1
	scratch_store_b32 off, v86, off offset:452
	scratch_store_b32 off, v5, off offset:308
	ds_store_2addr_b64 v5, v[48:49], v[44:45] offset1:4
	v_and_or_b32 v5, 0x5f8, v60, v81
	s_delay_alu instid0(VALU_DEP_1)
	v_lshlrev_b32_e32 v5, 3, v5
	ds_store_2addr_b64 v5, v[0:1], v[50:51] offset1:4
	v_and_or_b32 v0, 0x5f8, v56, v83
	v_sub_f32_e32 v53, v3, v53
	v_and_b32_e32 v50, 7, v17
	v_and_b32_e32 v51, 7, v16
	s_delay_alu instid0(VALU_DEP_4) | instskip(NEXT) | instid1(VALU_DEP_4)
	v_lshlrev_b32_e32 v0, 3, v0
	v_fma_f32 v3, v3, 2.0, -v53
	s_clause 0x1
	scratch_store_b32 off, v15, off offset:364
	scratch_store_b32 off, v5, off offset:304
	v_and_b32_e32 v5, 7, v172
	v_and_b32_e32 v15, 7, v78
	scratch_store_b32 off, v0, off offset:300 ; 4-byte Folded Spill
	ds_store_2addr_b64 v0, v[2:3], v[52:53] offset1:4
	global_wb scope:SCOPE_SE
	s_wait_storecnt_dscnt 0x0
	v_lshlrev_b32_e32 v0, 4, v5
	v_lshlrev_b32_e32 v1, 4, v15
	s_barrier_signal -1
	s_barrier_wait -1
	global_inv scope:SCOPE_SE
	s_clause 0x1
	global_load_b128 v[124:127], v0, s[10:11] offset:48
	global_load_b128 v[116:119], v1, s[10:11] offset:48
	ds_load_2addr_b64 v[0:3], v75 offset0:120 offset1:183
	s_wait_loadcnt_dscnt 0x100
	v_mul_f32_e32 v6, v1, v125
	v_mul_f32_e32 v7, v0, v125
	s_wait_loadcnt 0x0
	v_mul_f32_e32 v27, v2, v117
	s_delay_alu instid0(VALU_DEP_3) | instskip(NEXT) | instid1(VALU_DEP_3)
	v_fma_f32 v6, v0, v124, -v6
	v_dual_mul_f32 v0, v3, v117 :: v_dual_fmac_f32 v7, v1, v124
	s_delay_alu instid0(VALU_DEP_3) | instskip(NEXT) | instid1(VALU_DEP_2)
	v_fmac_f32_e32 v27, v3, v116
	v_fma_f32 v26, v2, v116, -v0
	ds_load_2addr_b64 v[0:3], v72 offset0:112 offset1:175
	s_wait_dscnt 0x0
	v_mul_f32_e32 v8, v1, v127
	v_mul_f32_e32 v9, v0, v127
	;; [unrolled: 1-line block ×3, first 2 shown]
	s_delay_alu instid0(VALU_DEP_3) | instskip(NEXT) | instid1(VALU_DEP_3)
	v_fma_f32 v8, v0, v126, -v8
	v_dual_mul_f32 v0, v3, v119 :: v_dual_fmac_f32 v9, v1, v126
	v_lshlrev_b32_e32 v1, 4, v31
	s_delay_alu instid0(VALU_DEP_4) | instskip(NEXT) | instid1(VALU_DEP_3)
	v_fmac_f32_e32 v29, v3, v118
	v_fma_f32 v28, v2, v118, -v0
	v_lshlrev_b32_e32 v0, 4, v30
	s_clause 0x1
	global_load_b128 v[120:123], v0, s[10:11] offset:48
	global_load_b128 v[108:111], v1, s[10:11] offset:48
	ds_load_2addr_b64 v[0:3], v67 offset0:118 offset1:181
	s_wait_loadcnt_dscnt 0x100
	v_dual_mul_f32 v10, v1, v121 :: v_dual_and_b32 v41, 7, v18
	v_mul_f32_e32 v33, v0, v121
	s_wait_loadcnt 0x0
	v_mul_f32_e32 v35, v2, v109
	s_delay_alu instid0(VALU_DEP_3) | instskip(NEXT) | instid1(VALU_DEP_3)
	v_fma_f32 v32, v0, v120, -v10
	v_dual_mul_f32 v0, v3, v109 :: v_dual_fmac_f32 v33, v1, v120
	s_delay_alu instid0(VALU_DEP_3) | instskip(NEXT) | instid1(VALU_DEP_2)
	v_fmac_f32_e32 v35, v3, v108
	v_fma_f32 v34, v2, v108, -v0
	ds_load_2addr_b64 v[0:3], v76 offset0:110 offset1:173
	s_wait_dscnt 0x0
	v_mul_f32_e32 v10, v1, v123
	v_mul_f32_e32 v37, v0, v123
	;; [unrolled: 1-line block ×3, first 2 shown]
	s_delay_alu instid0(VALU_DEP_3) | instskip(NEXT) | instid1(VALU_DEP_3)
	v_fma_f32 v36, v0, v122, -v10
	v_dual_mul_f32 v0, v3, v111 :: v_dual_fmac_f32 v37, v1, v122
	v_lshlrev_b32_e32 v1, 4, v41
	s_delay_alu instid0(VALU_DEP_4) | instskip(NEXT) | instid1(VALU_DEP_3)
	v_fmac_f32_e32 v39, v3, v110
	v_fma_f32 v38, v2, v110, -v0
	v_lshlrev_b32_e32 v0, 4, v40
	s_clause 0x1
	global_load_b128 v[112:115], v0, s[10:11] offset:48
	global_load_b128 v[100:103], v1, s[10:11] offset:48
	ds_load_2addr_b64 v[0:3], v77 offset0:116 offset1:179
	s_wait_loadcnt_dscnt 0x100
	v_mul_f32_e32 v10, v1, v113
	v_mul_f32_e32 v43, v0, v113
	s_wait_loadcnt 0x0
	v_mul_f32_e32 v45, v2, v101
	s_delay_alu instid0(VALU_DEP_3) | instskip(NEXT) | instid1(VALU_DEP_3)
	v_fma_f32 v42, v0, v112, -v10
	v_dual_mul_f32 v0, v3, v101 :: v_dual_fmac_f32 v43, v1, v112
	v_sub_f32_e32 v60, v7, v9
	s_delay_alu instid0(VALU_DEP_4) | instskip(SKIP_1) | instid1(VALU_DEP_4)
	v_fmac_f32_e32 v45, v3, v100
	v_sub_f32_e32 v61, v6, v8
	v_fma_f32 v44, v2, v100, -v0
	ds_load_2addr_b64 v[0:3], v74 offset0:108 offset1:171
	s_wait_dscnt 0x0
	v_mul_f32_e32 v10, v1, v115
	v_mul_f32_e32 v47, v0, v115
	;; [unrolled: 1-line block ×3, first 2 shown]
	s_delay_alu instid0(VALU_DEP_3) | instskip(NEXT) | instid1(VALU_DEP_3)
	v_fma_f32 v46, v0, v114, -v10
	v_dual_mul_f32 v0, v3, v103 :: v_dual_fmac_f32 v47, v1, v114
	v_lshlrev_b32_e32 v1, 4, v51
	s_delay_alu instid0(VALU_DEP_4) | instskip(NEXT) | instid1(VALU_DEP_3)
	v_fmac_f32_e32 v49, v3, v102
	v_fma_f32 v48, v2, v102, -v0
	v_lshlrev_b32_e32 v0, 4, v50
	s_clause 0x1
	global_load_b128 v[104:107], v0, s[10:11] offset:48
	global_load_b128 v[96:99], v1, s[10:11] offset:48
	ds_load_2addr_b64 v[0:3], v65 offset0:114 offset1:177
	s_wait_loadcnt_dscnt 0x100
	v_mul_f32_e32 v10, v1, v105
	v_mul_f32_e32 v53, v0, v105
	s_wait_loadcnt 0x0
	v_mul_f32_e32 v55, v2, v97
	s_delay_alu instid0(VALU_DEP_3) | instskip(NEXT) | instid1(VALU_DEP_3)
	v_fma_f32 v52, v0, v104, -v10
	v_dual_mul_f32 v0, v3, v97 :: v_dual_fmac_f32 v53, v1, v104
	s_delay_alu instid0(VALU_DEP_3) | instskip(NEXT) | instid1(VALU_DEP_2)
	v_fmac_f32_e32 v55, v3, v96
	v_fma_f32 v54, v2, v96, -v0
	ds_load_2addr_b64 v[0:3], v66 offset0:106 offset1:169
	s_wait_dscnt 0x0
	v_mul_f32_e32 v10, v1, v107
	v_mul_f32_e32 v57, v0, v107
	;; [unrolled: 1-line block ×3, first 2 shown]
	s_delay_alu instid0(VALU_DEP_3) | instskip(NEXT) | instid1(VALU_DEP_3)
	v_fma_f32 v56, v0, v106, -v10
	v_dual_mul_f32 v0, v3, v99 :: v_dual_fmac_f32 v57, v1, v106
	s_delay_alu instid0(VALU_DEP_3) | instskip(NEXT) | instid1(VALU_DEP_2)
	v_fmac_f32_e32 v59, v3, v98
	v_fma_f32 v58, v2, v98, -v0
	v_lshrrev_b32_e32 v0, 3, v172
	s_delay_alu instid0(VALU_DEP_1) | instskip(NEXT) | instid1(VALU_DEP_1)
	v_mul_u32_u24_e32 v0, 24, v0
	v_or_b32_e32 v5, v0, v5
	ds_load_2addr_b64 v[0:3], v251 offset1:63
	v_lshlrev_b32_e32 v62, 3, v5
	s_wait_dscnt 0x0
	v_dual_add_f32 v10, v1, v7 :: v_dual_add_f32 v7, v7, v9
	s_delay_alu instid0(VALU_DEP_1) | instskip(NEXT) | instid1(VALU_DEP_2)
	v_dual_add_f32 v14, v10, v9 :: v_dual_add_f32 v9, v0, v6
	v_fma_f32 v1, -0.5, v7, v1
	s_delay_alu instid0(VALU_DEP_2) | instskip(SKIP_1) | instid1(VALU_DEP_3)
	v_add_f32_e32 v13, v9, v8
	v_add_f32_e32 v9, v6, v8
	v_fmamk_f32 v25, v61, 0xbf5db3d7, v1
	v_fmac_f32_e32 v1, 0x3f5db3d7, v61
	s_delay_alu instid0(VALU_DEP_3)
	v_fma_f32 v0, -0.5, v9, v0
	ds_load_2addr_b64 v[5:8], v251 offset0:126 offset1:189
	ds_load_2addr_b64 v[9:12], v73 offset0:124 offset1:187
	;; [unrolled: 1-line block ×3, first 2 shown]
	global_wb scope:SCOPE_SE
	s_wait_dscnt 0x0
	s_barrier_signal -1
	s_barrier_wait -1
	v_fmamk_f32 v24, v60, 0x3f5db3d7, v0
	v_fmac_f32_e32 v0, 0xbf5db3d7, v60
	global_inv scope:SCOPE_SE
	ds_store_2addr_b64 v62, v[13:14], v[24:25] offset1:8
	ds_store_b64 v62, v[0:1] offset:128
	v_lshrrev_b32_e32 v0, 3, v78
	v_add_f32_e32 v14, v27, v29
	v_add_f32_e32 v24, v26, v28
	v_sub_f32_e32 v25, v26, v28
	s_delay_alu instid0(VALU_DEP_4) | instskip(NEXT) | instid1(VALU_DEP_1)
	v_mul_u32_u24_e32 v0, 24, v0
	v_or_b32_e32 v13, v0, v15
	v_add_f32_e32 v0, v3, v27
	v_sub_f32_e32 v15, v27, v29
	v_fmac_f32_e32 v3, -0.5, v14
	s_delay_alu instid0(VALU_DEP_3) | instskip(SKIP_2) | instid1(VALU_DEP_4)
	v_dual_add_f32 v1, v0, v29 :: v_dual_add_f32 v0, v2, v26
	v_fma_f32 v2, -0.5, v24, v2
	v_lshlrev_b32_e32 v24, 3, v13
	v_fmamk_f32 v14, v25, 0xbf5db3d7, v3
	s_delay_alu instid0(VALU_DEP_4) | instskip(NEXT) | instid1(VALU_DEP_4)
	v_dual_fmac_f32 v3, 0x3f5db3d7, v25 :: v_dual_add_f32 v0, v0, v28
	v_fmamk_f32 v13, v15, 0x3f5db3d7, v2
	v_dual_fmac_f32 v2, 0xbf5db3d7, v15 :: v_dual_sub_f32 v15, v32, v36
	ds_store_2addr_b64 v24, v[0:1], v[13:14] offset1:8
	v_lshrrev_b32_e32 v0, 3, v4
	ds_store_b64 v24, v[2:3] offset:128
	v_dual_add_f32 v3, v33, v37 :: v_dual_add_f32 v2, v32, v36
	v_sub_f32_e32 v14, v33, v37
	v_mul_u32_u24_e32 v0, 24, v0
	s_delay_alu instid0(VALU_DEP_3) | instskip(NEXT) | instid1(VALU_DEP_4)
	v_fma_f32 v3, -0.5, v3, v6
	v_fma_f32 v2, -0.5, v2, v5
	s_delay_alu instid0(VALU_DEP_3) | instskip(SKIP_1) | instid1(VALU_DEP_4)
	v_or_b32_e32 v13, v0, v30
	v_add_f32_e32 v0, v6, v33
	v_fmamk_f32 v6, v15, 0xbf5db3d7, v3
	v_fmac_f32_e32 v3, 0x3f5db3d7, v15
	v_and_b32_e32 v33, 0xff, v178
	v_lshlrev_b32_e32 v13, 3, v13
	v_dual_add_f32 v1, v0, v37 :: v_dual_add_f32 v0, v5, v32
	v_fmamk_f32 v5, v14, 0x3f5db3d7, v2
	v_fmac_f32_e32 v2, 0xbf5db3d7, v14
	s_delay_alu instid0(VALU_DEP_3)
	v_add_f32_e32 v0, v0, v36
	ds_store_b64 v13, v[2:3] offset:128
	v_add_f32_e32 v3, v35, v39
	ds_store_2addr_b64 v13, v[0:1], v[5:6] offset1:8
	v_lshrrev_b32_e32 v0, 3, v178
	v_dual_add_f32 v6, v34, v38 :: v_dual_sub_f32 v5, v35, v39
	s_delay_alu instid0(VALU_DEP_2) | instskip(NEXT) | instid1(VALU_DEP_1)
	v_mul_u32_u24_e32 v0, 24, v0
	v_or_b32_e32 v2, v0, v31
	v_add_f32_e32 v0, v8, v35
	v_dual_fmac_f32 v8, -0.5, v3 :: v_dual_and_b32 v31, 0xff, v4
	s_delay_alu instid0(VALU_DEP_2)
	v_dual_add_f32 v1, v0, v39 :: v_dual_add_f32 v0, v7, v34
	v_fma_f32 v7, -0.5, v6, v7
	v_lshlrev_b32_e32 v6, 3, v2
	scratch_store_b32 off, v13, off offset:292 ; 4-byte Folded Spill
	v_sub_f32_e32 v13, v34, v38
	v_add_f32_e32 v0, v0, v38
	v_fmamk_f32 v2, v5, 0x3f5db3d7, v7
	v_fmac_f32_e32 v7, 0xbf5db3d7, v5
	scratch_store_b32 off, v6, off offset:288 ; 4-byte Folded Spill
	v_fmamk_f32 v3, v13, 0xbf5db3d7, v8
	v_fmac_f32_e32 v8, 0x3f5db3d7, v13
	ds_store_2addr_b64 v6, v[0:1], v[2:3] offset1:8
	v_lshrrev_b32_e32 v0, 3, v19
	v_dual_add_f32 v3, v43, v47 :: v_dual_add_f32 v2, v42, v46
	ds_store_b64 v6, v[7:8] offset:128
	v_sub_f32_e32 v7, v43, v47
	v_mul_u32_u24_e32 v0, 24, v0
	v_sub_f32_e32 v8, v42, v46
	v_fma_f32 v2, -0.5, v2, v9
	v_fma_f32 v3, -0.5, v3, v10
	s_delay_alu instid0(VALU_DEP_4) | instskip(SKIP_1) | instid1(VALU_DEP_3)
	v_or_b32_e32 v5, v0, v40
	v_add_f32_e32 v0, v10, v43
	v_fmamk_f32 v6, v8, 0xbf5db3d7, v3
	v_fmac_f32_e32 v3, 0x3f5db3d7, v8
	v_sub_f32_e32 v8, v52, v56
	s_delay_alu instid0(VALU_DEP_4) | instskip(SKIP_3) | instid1(VALU_DEP_4)
	v_dual_add_f32 v1, v0, v47 :: v_dual_add_f32 v0, v9, v42
	v_lshlrev_b32_e32 v9, 3, v5
	v_fmamk_f32 v5, v7, 0x3f5db3d7, v2
	v_dual_fmac_f32 v2, 0xbf5db3d7, v7 :: v_dual_sub_f32 v7, v44, v48
	v_add_f32_e32 v0, v0, v46
	ds_store_b64 v9, v[2:3] offset:128
	v_add_f32_e32 v3, v45, v49
	ds_store_2addr_b64 v9, v[0:1], v[5:6] offset1:8
	v_lshrrev_b32_e32 v0, 3, v18
	v_dual_add_f32 v6, v44, v48 :: v_dual_sub_f32 v5, v45, v49
	s_delay_alu instid0(VALU_DEP_2) | instskip(NEXT) | instid1(VALU_DEP_1)
	v_mul_u32_u24_e32 v0, 24, v0
	v_or_b32_e32 v2, v0, v41
	v_add_f32_e32 v0, v12, v45
	s_delay_alu instid0(VALU_DEP_1) | instskip(SKIP_2) | instid1(VALU_DEP_3)
	v_dual_fmac_f32 v12, -0.5, v3 :: v_dual_add_f32 v1, v0, v49
	v_add_f32_e32 v0, v11, v44
	v_fma_f32 v11, -0.5, v6, v11
	v_dual_fmamk_f32 v3, v7, 0xbf5db3d7, v12 :: v_dual_lshlrev_b32 v6, 3, v2
	v_fmac_f32_e32 v12, 0x3f5db3d7, v7
	s_delay_alu instid0(VALU_DEP_4) | instskip(NEXT) | instid1(VALU_DEP_4)
	v_add_f32_e32 v0, v0, v48
	v_fmamk_f32 v2, v5, 0x3f5db3d7, v11
	v_fmac_f32_e32 v11, 0xbf5db3d7, v5
	v_sub_f32_e32 v7, v53, v57
	s_clause 0x2
	scratch_store_b32 off, v24, off offset:296
	scratch_store_b32 off, v9, off offset:280
	scratch_store_b32 off, v6, off offset:276
	ds_store_2addr_b64 v6, v[0:1], v[2:3] offset1:8
	v_lshrrev_b32_e32 v0, 3, v17
	v_dual_add_f32 v3, v53, v57 :: v_dual_add_f32 v2, v52, v56
	ds_store_b64 v6, v[11:12] offset:128
	v_mul_u32_u24_e32 v0, 24, v0
	v_fma_f32 v3, -0.5, v3, v21
	v_fma_f32 v2, -0.5, v2, v20
	s_delay_alu instid0(VALU_DEP_3) | instskip(SKIP_1) | instid1(VALU_DEP_4)
	v_or_b32_e32 v5, v0, v50
	v_add_f32_e32 v0, v21, v53
	v_fmamk_f32 v6, v8, 0xbf5db3d7, v3
	v_fmac_f32_e32 v3, 0x3f5db3d7, v8
	s_delay_alu instid0(VALU_DEP_4) | instskip(NEXT) | instid1(VALU_DEP_4)
	v_lshlrev_b32_e32 v9, 3, v5
	v_add_f32_e32 v1, v0, v57
	v_dual_add_f32 v0, v20, v52 :: v_dual_fmamk_f32 v5, v7, 0x3f5db3d7, v2
	v_dual_fmac_f32 v2, 0xbf5db3d7, v7 :: v_dual_sub_f32 v7, v54, v58
	s_delay_alu instid0(VALU_DEP_2)
	v_add_f32_e32 v0, v0, v56
	ds_store_b64 v9, v[2:3] offset:128
	v_add_f32_e32 v3, v55, v59
	ds_store_2addr_b64 v9, v[0:1], v[5:6] offset1:8
	v_lshrrev_b32_e32 v0, 3, v16
	v_dual_add_f32 v6, v54, v58 :: v_dual_sub_f32 v5, v55, v59
	s_delay_alu instid0(VALU_DEP_2) | instskip(NEXT) | instid1(VALU_DEP_1)
	v_mul_u32_u24_e32 v0, 24, v0
	v_or_b32_e32 v2, v0, v51
	v_add_f32_e32 v0, v23, v55
	v_fmac_f32_e32 v23, -0.5, v3
	s_delay_alu instid0(VALU_DEP_2) | instskip(SKIP_1) | instid1(VALU_DEP_3)
	v_dual_add_f32 v1, v0, v59 :: v_dual_add_f32 v0, v22, v54
	v_fma_f32 v22, -0.5, v6, v22
	v_dual_fmamk_f32 v3, v7, 0xbf5db3d7, v23 :: v_dual_lshlrev_b32 v6, 3, v2
	s_delay_alu instid0(VALU_DEP_3) | instskip(NEXT) | instid1(VALU_DEP_3)
	v_dual_fmac_f32 v23, 0x3f5db3d7, v7 :: v_dual_add_f32 v0, v0, v58
	v_fmamk_f32 v2, v5, 0x3f5db3d7, v22
	v_fmac_f32_e32 v22, 0xbf5db3d7, v5
	s_clause 0x2
	scratch_store_b32 off, v62, off offset:284
	scratch_store_b32 off, v9, off offset:272
	;; [unrolled: 1-line block ×3, first 2 shown]
	ds_store_2addr_b64 v6, v[0:1], v[2:3] offset1:8
	v_and_b32_e32 v0, 0xff, v64
	v_and_b32_e32 v1, 0xff, v78
	ds_store_b64 v6, v[22:23] offset:128
	global_wb scope:SCOPE_SE
	s_wait_storecnt_dscnt 0x0
	s_barrier_signal -1
	v_mul_lo_u16 v0, 0xab, v0
	v_mul_lo_u16 v1, 0xab, v1
	s_barrier_wait -1
	global_inv scope:SCOPE_SE
	v_lshrrev_b16 v5, 12, v0
	v_lshrrev_b16 v15, 12, v1
	s_delay_alu instid0(VALU_DEP_2) | instskip(NEXT) | instid1(VALU_DEP_2)
	v_mul_lo_u16 v0, v5, 24
	v_mul_lo_u16 v1, v15, 24
	;; [unrolled: 1-line block ×3, first 2 shown]
	s_delay_alu instid0(VALU_DEP_3) | instskip(NEXT) | instid1(VALU_DEP_3)
	v_sub_nc_u16 v0, v64, v0
	v_sub_nc_u16 v1, v78, v1
	s_delay_alu instid0(VALU_DEP_3) | instskip(NEXT) | instid1(VALU_DEP_3)
	v_and_b32_e32 v5, 0xf8, v5
	v_and_b32_e32 v6, 0xff, v0
	s_delay_alu instid0(VALU_DEP_3) | instskip(NEXT) | instid1(VALU_DEP_2)
	v_and_b32_e32 v26, 0xff, v1
	v_lshlrev_b32_e32 v0, 4, v6
	s_delay_alu instid0(VALU_DEP_2)
	v_lshlrev_b32_e32 v1, 4, v26
	s_clause 0x1
	global_load_b128 v[68:71], v0, s[10:11] offset:176
	global_load_b128 v[48:51], v1, s[10:11] offset:176
	ds_load_2addr_b64 v[0:3], v75 offset0:120 offset1:183
	v_add_lshl_u32 v152, v5, v6, 3
	s_wait_loadcnt_dscnt 0x100
	v_mul_f32_e32 v7, v1, v69
	v_mul_f32_e32 v8, v0, v69
	s_wait_loadcnt 0x0
	v_mul_f32_e32 v28, v2, v49
	s_delay_alu instid0(VALU_DEP_3) | instskip(SKIP_2) | instid1(VALU_DEP_4)
	v_fma_f32 v7, v0, v68, -v7
	v_mul_f32_e32 v0, v3, v49
	v_fmac_f32_e32 v8, v1, v68
	v_fmac_f32_e32 v28, v3, v48
	s_delay_alu instid0(VALU_DEP_3)
	v_fma_f32 v27, v2, v48, -v0
	ds_load_2addr_b64 v[0:3], v72 offset0:112 offset1:175
	s_wait_dscnt 0x0
	v_mul_f32_e32 v9, v1, v71
	v_mul_f32_e32 v10, v0, v71
	;; [unrolled: 1-line block ×3, first 2 shown]
	s_delay_alu instid0(VALU_DEP_3) | instskip(SKIP_1) | instid1(VALU_DEP_4)
	v_fma_f32 v9, v0, v70, -v9
	v_mul_f32_e32 v0, v3, v51
	v_fmac_f32_e32 v10, v1, v70
	s_delay_alu instid0(VALU_DEP_4) | instskip(NEXT) | instid1(VALU_DEP_3)
	v_fmac_f32_e32 v30, v3, v50
	v_fma_f32 v29, v2, v50, -v0
	v_mul_lo_u16 v0, 0xab, v31
	s_delay_alu instid0(VALU_DEP_4) | instskip(NEXT) | instid1(VALU_DEP_2)
	v_sub_f32_e32 v149, v8, v10
	v_lshrrev_b16 v32, 12, v0
	v_mul_lo_u16 v0, 0xab, v33
	s_delay_alu instid0(VALU_DEP_1) | instskip(NEXT) | instid1(VALU_DEP_3)
	v_lshrrev_b16 v34, 12, v0
	v_mul_lo_u16 v0, v32, 24
	s_delay_alu instid0(VALU_DEP_2) | instskip(NEXT) | instid1(VALU_DEP_2)
	v_mul_lo_u16 v1, v34, 24
	v_sub_nc_u16 v0, v4, v0
	s_delay_alu instid0(VALU_DEP_2) | instskip(NEXT) | instid1(VALU_DEP_2)
	v_sub_nc_u16 v1, v178, v1
	v_and_b32_e32 v35, 0xff, v0
	s_delay_alu instid0(VALU_DEP_2) | instskip(NEXT) | instid1(VALU_DEP_2)
	v_and_b32_e32 v80, 0xff, v1
	v_lshlrev_b32_e32 v0, 4, v35
	s_delay_alu instid0(VALU_DEP_2)
	v_lshlrev_b32_e32 v1, 4, v80
	s_clause 0x1
	global_load_b128 v[52:55], v0, s[10:11] offset:176
	global_load_b128 v[36:39], v1, s[10:11] offset:176
	ds_load_2addr_b64 v[0:3], v67 offset0:118 offset1:181
	s_wait_loadcnt_dscnt 0x100
	v_mul_f32_e32 v11, v1, v53
	v_mul_f32_e32 v82, v0, v53
	s_wait_loadcnt 0x0
	v_mul_f32_e32 v84, v2, v37
	s_delay_alu instid0(VALU_DEP_3) | instskip(SKIP_2) | instid1(VALU_DEP_4)
	v_fma_f32 v81, v0, v52, -v11
	v_mul_f32_e32 v0, v3, v37
	v_fmac_f32_e32 v82, v1, v52
	v_fmac_f32_e32 v84, v3, v36
	s_delay_alu instid0(VALU_DEP_3)
	v_fma_f32 v83, v2, v36, -v0
	ds_load_2addr_b64 v[0:3], v76 offset0:110 offset1:173
	s_wait_dscnt 0x0
	v_mul_f32_e32 v11, v1, v55
	v_mul_f32_e32 v86, v0, v55
	v_mul_f32_e32 v88, v2, v39
	s_delay_alu instid0(VALU_DEP_3) | instskip(SKIP_1) | instid1(VALU_DEP_4)
	v_fma_f32 v85, v0, v54, -v11
	v_mul_f32_e32 v0, v3, v39
	v_fmac_f32_e32 v86, v1, v54
	s_delay_alu instid0(VALU_DEP_4) | instskip(SKIP_1) | instid1(VALU_DEP_4)
	v_fmac_f32_e32 v88, v3, v38
	v_sub_f32_e32 v150, v7, v9
	v_fma_f32 v87, v2, v38, -v0
	v_mul_u32_u24_e32 v0, 0xaaab, v89
	s_delay_alu instid0(VALU_DEP_1) | instskip(SKIP_1) | instid1(VALU_DEP_1)
	v_lshrrev_b32_e32 v90, 20, v0
	v_mul_u32_u24_e32 v0, 0xaaab, v91
	v_lshrrev_b32_e32 v92, 20, v0
	s_delay_alu instid0(VALU_DEP_3) | instskip(NEXT) | instid1(VALU_DEP_1)
	v_mul_lo_u16 v0, v90, 24
	v_sub_nc_u16 v93, v19, v0
	s_delay_alu instid0(VALU_DEP_3) | instskip(NEXT) | instid1(VALU_DEP_1)
	v_mul_lo_u16 v0, v92, 24
	v_sub_nc_u16 v94, v18, v0
	s_delay_alu instid0(VALU_DEP_3) | instskip(NEXT) | instid1(VALU_DEP_2)
	v_lshlrev_b16 v0, 4, v93
	v_lshlrev_b16 v1, 4, v94
	s_delay_alu instid0(VALU_DEP_2) | instskip(NEXT) | instid1(VALU_DEP_2)
	v_and_b32_e32 v0, 0xffff, v0
	v_and_b32_e32 v2, 0xffff, v1
	s_delay_alu instid0(VALU_DEP_2) | instskip(SKIP_2) | instid1(VALU_DEP_3)
	v_add_co_u32 v0, s2, s10, v0
	s_wait_alu 0xf1ff
	v_add_co_ci_u32_e64 v1, null, s11, 0, s2
	v_add_co_u32 v2, s2, s10, v2
	s_wait_alu 0xf1ff
	v_add_co_ci_u32_e64 v3, null, s11, 0, s2
	s_clause 0x1
	global_load_b128 v[56:59], v[0:1], off offset:176
	global_load_b128 v[40:43], v[2:3], off offset:176
	ds_load_2addr_b64 v[0:3], v77 offset0:116 offset1:179
	s_wait_loadcnt_dscnt 0x100
	v_mul_f32_e32 v11, v1, v57
	v_mul_f32_e32 v128, v0, v57
	s_wait_loadcnt 0x0
	v_mul_f32_e32 v130, v2, v41
	s_delay_alu instid0(VALU_DEP_3) | instskip(SKIP_2) | instid1(VALU_DEP_4)
	v_fma_f32 v95, v0, v56, -v11
	v_mul_f32_e32 v0, v3, v41
	v_fmac_f32_e32 v128, v1, v56
	v_fmac_f32_e32 v130, v3, v40
	s_delay_alu instid0(VALU_DEP_3)
	v_fma_f32 v129, v2, v40, -v0
	ds_load_2addr_b64 v[0:3], v74 offset0:108 offset1:171
	s_wait_dscnt 0x0
	v_mul_f32_e32 v132, v0, v59
	v_mul_f32_e32 v134, v2, v43
	;; [unrolled: 1-line block ×3, first 2 shown]
	s_delay_alu instid0(VALU_DEP_3) | instskip(NEXT) | instid1(VALU_DEP_3)
	v_fmac_f32_e32 v132, v1, v58
	v_fmac_f32_e32 v134, v3, v42
	s_delay_alu instid0(VALU_DEP_3) | instskip(SKIP_1) | instid1(VALU_DEP_1)
	v_fma_f32 v131, v0, v58, -v11
	v_mul_f32_e32 v0, v3, v43
	v_fma_f32 v133, v2, v42, -v0
	v_mul_u32_u24_e32 v0, 0xaaab, v135
	s_delay_alu instid0(VALU_DEP_1) | instskip(SKIP_1) | instid1(VALU_DEP_1)
	v_lshrrev_b32_e32 v136, 20, v0
	v_mul_u32_u24_e32 v0, 0xaaab, v137
	v_lshrrev_b32_e32 v138, 20, v0
	s_delay_alu instid0(VALU_DEP_3) | instskip(NEXT) | instid1(VALU_DEP_1)
	v_mul_lo_u16 v0, v136, 24
	v_sub_nc_u16 v139, v17, v0
	s_delay_alu instid0(VALU_DEP_3) | instskip(NEXT) | instid1(VALU_DEP_1)
	v_mul_lo_u16 v0, v138, 24
	v_sub_nc_u16 v140, v16, v0
	s_delay_alu instid0(VALU_DEP_3) | instskip(NEXT) | instid1(VALU_DEP_2)
	v_lshlrev_b16 v0, 4, v139
	v_lshlrev_b16 v1, 4, v140
	s_delay_alu instid0(VALU_DEP_2) | instskip(NEXT) | instid1(VALU_DEP_2)
	v_and_b32_e32 v0, 0xffff, v0
	v_and_b32_e32 v2, 0xffff, v1
	s_delay_alu instid0(VALU_DEP_2) | instskip(SKIP_2) | instid1(VALU_DEP_3)
	v_add_co_u32 v0, s2, s10, v0
	s_wait_alu 0xf1ff
	v_add_co_ci_u32_e64 v1, null, s11, 0, s2
	v_add_co_u32 v2, s2, s10, v2
	s_wait_alu 0xf1ff
	v_add_co_ci_u32_e64 v3, null, s11, 0, s2
	s_clause 0x1
	global_load_b128 v[60:63], v[0:1], off offset:176
	global_load_b128 v[44:47], v[2:3], off offset:176
	ds_load_2addr_b64 v[0:3], v65 offset0:114 offset1:177
	s_wait_loadcnt_dscnt 0x100
	v_mul_f32_e32 v11, v1, v61
	v_mul_f32_e32 v142, v0, v61
	s_wait_loadcnt 0x0
	v_mul_f32_e32 v144, v2, v45
	s_delay_alu instid0(VALU_DEP_3) | instskip(SKIP_2) | instid1(VALU_DEP_4)
	v_fma_f32 v141, v0, v60, -v11
	v_mul_f32_e32 v0, v3, v45
	v_fmac_f32_e32 v142, v1, v60
	v_fmac_f32_e32 v144, v3, v44
	s_delay_alu instid0(VALU_DEP_3)
	v_fma_f32 v143, v2, v44, -v0
	ds_load_2addr_b64 v[0:3], v66 offset0:106 offset1:169
	s_wait_dscnt 0x0
	v_mul_f32_e32 v11, v1, v63
	v_mul_f32_e32 v146, v0, v63
	;; [unrolled: 1-line block ×3, first 2 shown]
	s_delay_alu instid0(VALU_DEP_3) | instskip(SKIP_1) | instid1(VALU_DEP_4)
	v_fma_f32 v145, v0, v62, -v11
	v_mul_f32_e32 v0, v3, v47
	v_fmac_f32_e32 v146, v1, v62
	s_delay_alu instid0(VALU_DEP_4) | instskip(NEXT) | instid1(VALU_DEP_3)
	v_fmac_f32_e32 v148, v3, v46
	v_fma_f32 v147, v2, v46, -v0
	ds_load_2addr_b64 v[0:3], v251 offset1:63
	s_wait_dscnt 0x0
	v_dual_add_f32 v11, v1, v8 :: v_dual_add_f32 v8, v8, v10
	s_delay_alu instid0(VALU_DEP_1) | instskip(SKIP_1) | instid1(VALU_DEP_3)
	v_add_f32_e32 v14, v11, v10
	v_add_f32_e32 v10, v0, v7
	v_fma_f32 v1, -0.5, v8, v1
	s_delay_alu instid0(VALU_DEP_2) | instskip(NEXT) | instid1(VALU_DEP_2)
	v_add_f32_e32 v13, v10, v9
	v_dual_add_f32 v10, v7, v9 :: v_dual_fmamk_f32 v25, v150, 0xbf5db3d7, v1
	v_fmac_f32_e32 v1, 0x3f5db3d7, v150
	s_delay_alu instid0(VALU_DEP_2)
	v_fma_f32 v0, -0.5, v10, v0
	ds_load_2addr_b64 v[5:8], v251 offset0:126 offset1:189
	ds_load_2addr_b64 v[9:12], v73 offset0:124 offset1:187
	;; [unrolled: 1-line block ×3, first 2 shown]
	global_wb scope:SCOPE_SE
	s_wait_dscnt 0x0
	s_barrier_signal -1
	s_barrier_wait -1
	v_fmamk_f32 v24, v149, 0x3f5db3d7, v0
	global_inv scope:SCOPE_SE
	v_fmac_f32_e32 v0, 0xbf5db3d7, v149
	ds_store_2addr_b64 v152, v[13:14], v[24:25] offset1:24
	v_add_f32_e32 v13, v28, v30
	ds_store_b64 v152, v[0:1] offset:384
	v_add_f32_e32 v0, v3, v28
	v_add_f32_e32 v14, v27, v29
	v_dual_sub_f32 v24, v28, v30 :: v_dual_fmac_f32 v3, -0.5, v13
	v_and_b32_e32 v13, 0xffff, v15
	s_delay_alu instid0(VALU_DEP_4) | instskip(SKIP_2) | instid1(VALU_DEP_4)
	v_dual_add_f32 v1, v0, v30 :: v_dual_add_f32 v0, v2, v27
	v_sub_f32_e32 v25, v27, v29
	v_fma_f32 v2, -0.5, v14, v2
	v_mul_u32_u24_e32 v13, 0x48, v13
	s_delay_alu instid0(VALU_DEP_4) | instskip(NEXT) | instid1(VALU_DEP_4)
	v_add_f32_e32 v0, v0, v29
	v_fmamk_f32 v14, v25, 0xbf5db3d7, v3
	v_fmac_f32_e32 v3, 0x3f5db3d7, v25
	s_delay_alu instid0(VALU_DEP_4)
	v_add_lshl_u32 v15, v13, v26, 3
	v_fmamk_f32 v13, v24, 0x3f5db3d7, v2
	v_fmac_f32_e32 v2, 0xbf5db3d7, v24
	scratch_store_b32 off, v15, off offset:240 ; 4-byte Folded Spill
	ds_store_2addr_b64 v15, v[0:1], v[13:14] offset1:24
	ds_store_b64 v15, v[2:3] offset:384
	v_add_f32_e32 v0, v6, v82
	v_dual_add_f32 v2, v81, v85 :: v_dual_add_f32 v3, v82, v86
	v_dual_sub_f32 v13, v82, v86 :: v_dual_sub_f32 v14, v81, v85
	s_delay_alu instid0(VALU_DEP_3) | instskip(NEXT) | instid1(VALU_DEP_3)
	v_dual_add_f32 v1, v0, v86 :: v_dual_add_f32 v0, v5, v81
	v_fma_f32 v2, -0.5, v2, v5
	v_and_b32_e32 v5, 0xffff, v32
	v_fma_f32 v3, -0.5, v3, v6
	s_delay_alu instid0(VALU_DEP_4) | instskip(NEXT) | instid1(VALU_DEP_3)
	v_add_f32_e32 v0, v0, v85
	v_mul_u32_u24_e32 v5, 0x48, v5
	s_delay_alu instid0(VALU_DEP_3) | instskip(SKIP_1) | instid1(VALU_DEP_3)
	v_fmamk_f32 v6, v14, 0xbf5db3d7, v3
	v_fmac_f32_e32 v3, 0x3f5db3d7, v14
	v_add_lshl_u32 v15, v5, v35, 3
	v_fmamk_f32 v5, v13, 0x3f5db3d7, v2
	v_fmac_f32_e32 v2, 0xbf5db3d7, v13
	ds_store_2addr_b64 v15, v[0:1], v[5:6] offset1:24
	ds_store_b64 v15, v[2:3] offset:384
	v_add_f32_e32 v2, v84, v88
	v_dual_add_f32 v0, v8, v84 :: v_dual_add_f32 v3, v83, v87
	v_dual_sub_f32 v5, v84, v88 :: v_dual_sub_f32 v6, v83, v87
	s_delay_alu instid0(VALU_DEP_3) | instskip(NEXT) | instid1(VALU_DEP_3)
	v_fmac_f32_e32 v8, -0.5, v2
	v_dual_add_f32 v1, v0, v88 :: v_dual_and_b32 v2, 0xffff, v34
	v_add_f32_e32 v0, v7, v83
	v_fma_f32 v7, -0.5, v3, v7
	s_delay_alu instid0(VALU_DEP_4) | instskip(NEXT) | instid1(VALU_DEP_4)
	v_fmamk_f32 v3, v6, 0xbf5db3d7, v8
	v_mul_u32_u24_e32 v2, 0x48, v2
	v_fmac_f32_e32 v8, 0x3f5db3d7, v6
	v_add_f32_e32 v0, v0, v87
	s_delay_alu instid0(VALU_DEP_3)
	v_add_lshl_u32 v13, v2, v80, 3
	v_fmamk_f32 v2, v5, 0x3f5db3d7, v7
	v_fmac_f32_e32 v7, 0xbf5db3d7, v5
	v_mad_u16 v5, 0x48, v90, v93
	ds_store_2addr_b64 v13, v[0:1], v[2:3] offset1:24
	v_add_f32_e32 v0, v10, v128
	v_dual_add_f32 v3, v128, v132 :: v_dual_add_f32 v2, v95, v131
	ds_store_b64 v13, v[7:8] offset:384
	v_sub_f32_e32 v7, v128, v132
	v_dual_add_f32 v1, v0, v132 :: v_dual_add_f32 v0, v9, v95
	v_sub_f32_e32 v8, v95, v131
	v_fma_f32 v2, -0.5, v2, v9
	v_fma_f32 v3, -0.5, v3, v10
	v_and_b32_e32 v5, 0xffff, v5
	s_delay_alu instid0(VALU_DEP_1) | instskip(NEXT) | instid1(VALU_DEP_4)
	v_dual_fmamk_f32 v6, v8, 0xbf5db3d7, v3 :: v_dual_lshlrev_b32 v9, 3, v5
	v_fmamk_f32 v5, v7, 0x3f5db3d7, v2
	v_fmac_f32_e32 v2, 0xbf5db3d7, v7
	v_dual_fmac_f32 v3, 0x3f5db3d7, v8 :: v_dual_sub_f32 v8, v141, v145
	v_dual_add_f32 v0, v0, v131 :: v_dual_sub_f32 v7, v129, v133
	ds_store_b64 v9, v[2:3] offset:384
	v_mad_u16 v2, 0x48, v92, v94
	ds_store_2addr_b64 v9, v[0:1], v[5:6] offset1:24
	v_add_f32_e32 v0, v12, v130
	v_dual_add_f32 v3, v130, v134 :: v_dual_add_f32 v6, v129, v133
	v_sub_f32_e32 v5, v130, v134
	v_and_b32_e32 v2, 0xffff, v2
	s_delay_alu instid0(VALU_DEP_4) | instskip(NEXT) | instid1(VALU_DEP_4)
	v_dual_add_f32 v1, v0, v134 :: v_dual_add_f32 v0, v11, v129
	v_fma_f32 v11, -0.5, v6, v11
	v_fmac_f32_e32 v12, -0.5, v3
	s_delay_alu instid0(VALU_DEP_4)
	v_lshlrev_b32_e32 v6, 3, v2
	s_clause 0x1
	scratch_store_b32 off, v152, off offset:228
	scratch_store_b32 off, v9, off offset:220
	v_add_f32_e32 v0, v0, v133
	v_fmamk_f32 v2, v5, 0x3f5db3d7, v11
	v_fmamk_f32 v3, v7, 0xbf5db3d7, v12
	v_fmac_f32_e32 v11, 0xbf5db3d7, v5
	v_mad_u16 v5, 0x48, v136, v139
	v_dual_fmac_f32 v12, 0x3f5db3d7, v7 :: v_dual_sub_f32 v7, v142, v146
	ds_store_2addr_b64 v6, v[0:1], v[2:3] offset1:24
	v_add_f32_e32 v0, v21, v142
	v_dual_add_f32 v3, v142, v146 :: v_dual_add_f32 v2, v141, v145
	v_and_b32_e32 v5, 0xffff, v5
	scratch_store_b32 off, v6, off offset:216 ; 4-byte Folded Spill
	v_add_f32_e32 v1, v0, v146
	v_add_f32_e32 v0, v20, v141
	v_fma_f32 v2, -0.5, v2, v20
	v_fma_f32 v3, -0.5, v3, v21
	ds_store_b64 v6, v[11:12] offset:384
	v_lshlrev_b32_e32 v9, 3, v5
	v_dual_add_f32 v0, v0, v145 :: v_dual_fmamk_f32 v5, v7, 0x3f5db3d7, v2
	v_fmamk_f32 v6, v8, 0xbf5db3d7, v3
	v_fmac_f32_e32 v2, 0xbf5db3d7, v7
	v_fmac_f32_e32 v3, 0x3f5db3d7, v8
	v_sub_f32_e32 v7, v143, v147
	ds_store_2addr_b64 v9, v[0:1], v[5:6] offset1:24
	v_add_f32_e32 v0, v23, v144
	ds_store_b64 v9, v[2:3] offset:384
	v_mad_u16 v2, 0x48, v138, v140
	v_dual_add_f32 v3, v144, v148 :: v_dual_add_f32 v6, v143, v147
	v_sub_f32_e32 v5, v144, v148
	v_dual_add_f32 v1, v0, v148 :: v_dual_add_f32 v0, v22, v143
	s_delay_alu instid0(VALU_DEP_3) | instskip(NEXT) | instid1(VALU_DEP_4)
	v_fmac_f32_e32 v23, -0.5, v3
	v_fma_f32 v22, -0.5, v6, v22
	v_and_b32_e32 v2, 0xffff, v2
	s_delay_alu instid0(VALU_DEP_3) | instskip(NEXT) | instid1(VALU_DEP_2)
	v_dual_add_f32 v0, v0, v147 :: v_dual_fmamk_f32 v3, v7, 0xbf5db3d7, v23
	v_dual_fmac_f32 v23, 0x3f5db3d7, v7 :: v_dual_lshlrev_b32 v6, 3, v2
	s_delay_alu instid0(VALU_DEP_4)
	v_fmamk_f32 v2, v5, 0x3f5db3d7, v22
	v_fmac_f32_e32 v22, 0xbf5db3d7, v5
	s_clause 0x3
	scratch_store_b32 off, v15, off offset:232
	scratch_store_b32 off, v13, off offset:224
	;; [unrolled: 1-line block ×4, first 2 shown]
	ds_store_2addr_b64 v6, v[0:1], v[2:3] offset1:24
	ds_store_b64 v6, v[22:23] offset:384
	global_wb scope:SCOPE_SE
	s_wait_storecnt_dscnt 0x0
	s_barrier_signal -1
	s_barrier_wait -1
	global_inv scope:SCOPE_SE
	global_load_b128 v[8:11], v151, s[10:11] offset:560
	v_mul_lo_u16 v2, v31, 57
	ds_load_2addr_b64 v[12:15], v75 offset0:120 offset1:183
	v_add_co_u32 v0, s2, v172, -9
	s_wait_alu 0xf1ff
	v_add_co_ci_u32_e64 v1, null, 0, -1, s2
	v_lshrrev_b16 v90, 12, v2
	s_wait_alu 0xfffd
	v_cndmask_b32_e32 v86, v0, v78, vcc_lo
	scratch_store_b32 off, v151, off offset:204 ; 4-byte Folded Spill
	v_cndmask_b32_e32 v87, v1, v79, vcc_lo
	v_mul_lo_u16 v2, 0x48, v90
	s_delay_alu instid0(VALU_DEP_2) | instskip(NEXT) | instid1(VALU_DEP_2)
	v_lshlrev_b64_e32 v[0:1], 4, v[86:87]
	v_sub_nc_u16 v2, v4, v2
	s_delay_alu instid0(VALU_DEP_2) | instskip(NEXT) | instid1(VALU_DEP_2)
	v_add_co_u32 v0, vcc_lo, s10, v0
	v_and_b32_e32 v92, 0xff, v2
	s_wait_alu 0xfffd
	s_delay_alu instid0(VALU_DEP_4) | instskip(SKIP_4) | instid1(VALU_DEP_2)
	v_add_co_ci_u32_e32 v1, vcc_lo, s11, v1, vcc_lo
	v_cmp_lt_u16_e32 vcc_lo, 8, v64
	s_wait_loadcnt_dscnt 0x0
	v_mul_f32_e32 v2, v13, v9
	v_mul_f32_e32 v75, v12, v9
	v_fma_f32 v78, v12, v8, -v2
	v_lshlrev_b32_e32 v2, 4, v92
	s_clause 0x1
	global_load_b128 v[4:7], v[0:1], off offset:560
	global_load_b128 v[0:3], v2, s[10:11] offset:560
	v_fmac_f32_e32 v75, v13, v8
	ds_load_2addr_b64 v[22:25], v67 offset0:118 offset1:181
	s_wait_loadcnt 0x1
	v_mul_f32_e32 v12, v15, v5
	v_mul_f32_e32 v94, v14, v5
	s_wait_loadcnt_dscnt 0x0
	v_mul_f32_e32 v139, v22, v1
	s_delay_alu instid0(VALU_DEP_3) | instskip(NEXT) | instid1(VALU_DEP_3)
	v_fma_f32 v93, v14, v4, -v12
	v_fmac_f32_e32 v94, v15, v4
	ds_load_2addr_b64 v[12:15], v72 offset0:112 offset1:175
	s_wait_dscnt 0x0
	v_dual_fmac_f32 v139, v23, v0 :: v_dual_mul_f32 v20, v13, v11
	v_mul_f32_e32 v80, v12, v11
	v_mul_f32_e32 v128, v14, v7
	s_delay_alu instid0(VALU_DEP_3) | instskip(SKIP_1) | instid1(VALU_DEP_4)
	v_fma_f32 v79, v12, v10, -v20
	v_mul_f32_e32 v12, v15, v7
	v_fmac_f32_e32 v80, v13, v10
	s_delay_alu instid0(VALU_DEP_3) | instskip(NEXT) | instid1(VALU_DEP_3)
	v_dual_fmac_f32 v128, v15, v6 :: v_dual_sub_f32 v165, v78, v79
	v_fma_f32 v95, v14, v6, -v12
	v_mul_u32_u24_e32 v12, 0xe38f, v89
	v_mul_f32_e32 v14, v23, v1
	s_delay_alu instid0(VALU_DEP_2) | instskip(NEXT) | instid1(VALU_DEP_2)
	v_lshrrev_b32_e32 v89, 22, v12
	v_fma_f32 v138, v22, v0, -v14
	s_delay_alu instid0(VALU_DEP_2) | instskip(NEXT) | instid1(VALU_DEP_1)
	v_mul_lo_u16 v12, 0x48, v89
	v_sub_nc_u16 v129, v19, v12
	v_mul_lo_u16 v12, v33, 57
	s_delay_alu instid0(VALU_DEP_2) | instskip(NEXT) | instid1(VALU_DEP_2)
	v_lshlrev_b16 v13, 4, v129
	v_lshrrev_b16 v134, 12, v12
	s_delay_alu instid0(VALU_DEP_2) | instskip(NEXT) | instid1(VALU_DEP_2)
	v_and_b32_e32 v13, 0xffff, v13
	v_mul_lo_u16 v12, 0x48, v134
	s_delay_alu instid0(VALU_DEP_1) | instskip(NEXT) | instid1(VALU_DEP_1)
	v_sub_nc_u16 v12, v178, v12
	v_and_b32_e32 v136, 0xff, v12
	s_delay_alu instid0(VALU_DEP_4) | instskip(SKIP_2) | instid1(VALU_DEP_3)
	v_add_co_u32 v12, s2, s10, v13
	s_wait_alu 0xf1ff
	v_add_co_ci_u32_e64 v13, null, s11, 0, s2
	v_lshlrev_b32_e32 v19, 4, v136
	s_clause 0x1
	global_load_b128 v[12:15], v[12:13], off offset:560
	global_load_b128 v[20:23], v19, s[10:11] offset:560
	s_wait_loadcnt 0x0
	v_mul_f32_e32 v19, v25, v21
	v_mul_f32_e32 v141, v24, v21
	s_delay_alu instid0(VALU_DEP_2) | instskip(NEXT) | instid1(VALU_DEP_2)
	v_fma_f32 v140, v24, v20, -v19
	v_fmac_f32_e32 v141, v25, v20
	ds_load_2addr_b64 v[24:27], v76 offset0:110 offset1:173
	s_wait_dscnt 0x0
	v_mul_f32_e32 v19, v25, v3
	v_mul_f32_e32 v145, v26, v23
	;; [unrolled: 1-line block ×3, first 2 shown]
	s_delay_alu instid0(VALU_DEP_3) | instskip(SKIP_1) | instid1(VALU_DEP_4)
	v_fma_f32 v142, v24, v2, -v19
	v_mul_f32_e32 v19, v27, v23
	v_fmac_f32_e32 v145, v27, v22
	s_delay_alu instid0(VALU_DEP_4) | instskip(NEXT) | instid1(VALU_DEP_3)
	v_fmac_f32_e32 v143, v25, v2
	v_fma_f32 v144, v26, v22, -v19
	v_mul_u32_u24_e32 v19, 0xe38f, v91
	ds_load_2addr_b64 v[26:29], v77 offset0:116 offset1:179
	v_lshrrev_b32_e32 v91, 22, v19
	s_delay_alu instid0(VALU_DEP_1) | instskip(NEXT) | instid1(VALU_DEP_1)
	v_mul_lo_u16 v19, 0x48, v91
	v_sub_nc_u16 v146, v18, v19
	v_mul_u32_u24_e32 v18, 0xe38f, v135
	s_delay_alu instid0(VALU_DEP_1) | instskip(SKIP_2) | instid1(VALU_DEP_2)
	v_lshrrev_b32_e32 v135, 22, v18
	s_wait_dscnt 0x0
	v_mul_f32_e32 v149, v26, v13
	v_mul_lo_u16 v18, 0x48, v135
	s_delay_alu instid0(VALU_DEP_2) | instskip(NEXT) | instid1(VALU_DEP_2)
	v_fmac_f32_e32 v149, v27, v12
	v_sub_nc_u16 v147, v17, v18
	v_lshlrev_b16 v17, 4, v146
	s_delay_alu instid0(VALU_DEP_2) | instskip(NEXT) | instid1(VALU_DEP_2)
	v_lshlrev_b16 v18, 4, v147
	v_and_b32_e32 v17, 0xffff, v17
	s_delay_alu instid0(VALU_DEP_2) | instskip(NEXT) | instid1(VALU_DEP_2)
	v_and_b32_e32 v19, 0xffff, v18
	v_add_co_u32 v17, s2, s10, v17
	s_wait_alu 0xf1ff
	v_add_co_ci_u32_e64 v18, null, s11, 0, s2
	s_delay_alu instid0(VALU_DEP_3) | instskip(SKIP_3) | instid1(VALU_DEP_2)
	v_add_co_u32 v24, s2, s10, v19
	v_mul_f32_e32 v19, v27, v13
	s_wait_alu 0xf1ff
	v_add_co_ci_u32_e64 v25, null, s11, 0, s2
	v_fma_f32 v148, v26, v12, -v19
	s_clause 0x1
	global_load_b128 v[32:35], v[17:18], off offset:560
	global_load_b128 v[24:27], v[24:25], off offset:560
	s_wait_loadcnt 0x1
	v_mul_f32_e32 v17, v29, v33
	v_mul_f32_e32 v151, v28, v33
	s_delay_alu instid0(VALU_DEP_2) | instskip(NEXT) | instid1(VALU_DEP_2)
	v_fma_f32 v150, v28, v32, -v17
	v_fmac_f32_e32 v151, v29, v32
	ds_load_2addr_b64 v[28:31], v74 offset0:108 offset1:171
	s_wait_dscnt 0x0
	v_mul_f32_e32 v17, v29, v15
	v_mul_f32_e32 v153, v28, v15
	;; [unrolled: 1-line block ×3, first 2 shown]
	s_delay_alu instid0(VALU_DEP_3) | instskip(SKIP_1) | instid1(VALU_DEP_4)
	v_fma_f32 v152, v28, v14, -v17
	v_mul_f32_e32 v17, v31, v35
	v_fmac_f32_e32 v153, v29, v14
	s_delay_alu instid0(VALU_DEP_4) | instskip(SKIP_4) | instid1(VALU_DEP_1)
	v_fmac_f32_e32 v155, v31, v34
	v_add_f32_e32 v81, v75, v80
	v_sub_f32_e32 v164, v75, v80
	v_fma_f32 v154, v30, v34, -v17
	v_mul_u32_u24_e32 v17, 0xe38f, v137
	v_lshrrev_b32_e32 v17, 22, v17
	s_delay_alu instid0(VALU_DEP_1) | instskip(NEXT) | instid1(VALU_DEP_1)
	v_mul_lo_u16 v17, 0x48, v17
	v_sub_nc_u16 v137, v16, v17
	s_delay_alu instid0(VALU_DEP_1) | instskip(NEXT) | instid1(VALU_DEP_1)
	v_lshlrev_b16 v16, 4, v137
	v_and_b32_e32 v16, 0xffff, v16
	s_delay_alu instid0(VALU_DEP_1)
	v_add_co_u32 v28, s2, s10, v16
	ds_load_2addr_b64 v[16:19], v65 offset0:114 offset1:177
	s_wait_alu 0xf1ff
	v_add_co_ci_u32_e64 v29, null, s11, 0, s2
	s_load_b64 s[2:3], s[0:1], 0x38
	v_add_co_u32 v247, s0, s8, v251
	s_wait_alu 0xf1ff
	v_add_co_ci_u32_e64 v248, null, s9, 0, s0
	s_wait_loadcnt_dscnt 0x0
	v_mul_f32_e32 v30, v17, v25
	v_mul_f32_e32 v157, v16, v25
	s_delay_alu instid0(VALU_DEP_2) | instskip(SKIP_4) | instid1(VALU_DEP_2)
	v_fma_f32 v156, v16, v24, -v30
	global_load_b128 v[28:31], v[28:29], off offset:560
	s_wait_loadcnt 0x0
	v_dual_fmac_f32 v157, v17, v24 :: v_dual_mul_f32 v16, v19, v29
	v_mul_f32_e32 v159, v18, v29
	v_fma_f32 v158, v18, v28, -v16
	s_delay_alu instid0(VALU_DEP_2)
	v_fmac_f32_e32 v159, v19, v28
	ds_load_2addr_b64 v[16:19], v66 offset0:106 offset1:169
	s_wait_dscnt 0x0
	v_mul_f32_e32 v163, v18, v31
	v_mul_f32_e32 v74, v17, v27
	;; [unrolled: 1-line block ×3, first 2 shown]
	s_delay_alu instid0(VALU_DEP_3) | instskip(NEXT) | instid1(VALU_DEP_3)
	v_fmac_f32_e32 v163, v19, v30
	v_fma_f32 v160, v16, v26, -v74
	s_delay_alu instid0(VALU_DEP_3) | instskip(NEXT) | instid1(VALU_DEP_1)
	v_dual_mul_f32 v16, v19, v31 :: v_dual_fmac_f32 v161, v17, v26
	v_fma_f32 v162, v18, v30, -v16
	ds_load_2addr_b64 v[16:19], v251 offset1:63
	s_wait_dscnt 0x0
	v_add_f32_e32 v74, v17, v75
	v_fma_f32 v17, -0.5, v81, v17
	s_delay_alu instid0(VALU_DEP_2) | instskip(SKIP_2) | instid1(VALU_DEP_4)
	v_add_f32_e32 v75, v74, v80
	v_add_f32_e32 v80, v78, v79
	;; [unrolled: 1-line block ×3, first 2 shown]
	v_fmamk_f32 v88, v165, 0xbf5db3d7, v17
	v_fmac_f32_e32 v17, 0x3f5db3d7, v165
	s_delay_alu instid0(VALU_DEP_4) | instskip(NEXT) | instid1(VALU_DEP_4)
	v_fma_f32 v16, -0.5, v80, v16
	v_add_f32_e32 v74, v74, v79
	ds_load_2addr_b64 v[78:81], v73 offset0:124 offset1:187
	ds_load_2addr_b64 v[82:85], v251 offset0:126 offset1:189
	;; [unrolled: 1-line block ×3, first 2 shown]
	global_wb scope:SCOPE_SE
	s_wait_storecnt_dscnt 0x0
	s_wait_kmcnt 0x0
	s_barrier_signal -1
	v_fmamk_f32 v87, v164, 0x3f5db3d7, v16
	v_fmac_f32_e32 v16, 0xbf5db3d7, v164
	s_barrier_wait -1
	global_inv scope:SCOPE_SE
	v_cndmask_b32_e64 v73, 0, 0xd8, vcc_lo
	v_cmp_gt_u16_e32 vcc_lo, 27, v64
	ds_store_b64 v251, v[16:17] offset:1152
	v_add_f32_e32 v16, v19, v94
	s_delay_alu instid0(VALU_DEP_1)
	v_add_f32_e32 v17, v16, v128
	ds_store_2addr_b64 v251, v[74:75], v[87:88] offset1:72
	v_add_f32_e32 v74, v93, v95
	v_add_lshl_u32 v87, v86, v73, 3
	v_sub_f32_e32 v75, v94, v128
	v_add_f32_e32 v73, v94, v128
	v_add_f32_e32 v16, v18, v93
	v_fma_f32 v18, -0.5, v74, v18
	s_delay_alu instid0(VALU_DEP_3) | instskip(NEXT) | instid1(VALU_DEP_2)
	v_fmac_f32_e32 v19, -0.5, v73
	v_fmamk_f32 v73, v75, 0x3f5db3d7, v18
	v_fmac_f32_e32 v18, 0xbf5db3d7, v75
	v_sub_f32_e32 v75, v139, v143
	v_sub_f32_e32 v86, v93, v95
	v_add_f32_e32 v16, v16, v95
	s_delay_alu instid0(VALU_DEP_2)
	v_fmamk_f32 v74, v86, 0xbf5db3d7, v19
	v_fmac_f32_e32 v19, 0x3f5db3d7, v86
	v_sub_f32_e32 v86, v138, v142
	ds_store_b64 v87, v[18:19] offset:1152
	v_add_f32_e32 v19, v139, v143
	ds_store_2addr_b64 v87, v[16:17], v[73:74] offset1:72
	v_add_f32_e32 v18, v138, v142
	v_and_b32_e32 v73, 0xffff, v90
	v_fma_f32 v19, -0.5, v19, v83
	v_add_f32_e32 v16, v83, v139
	s_delay_alu instid0(VALU_DEP_4) | instskip(NEXT) | instid1(VALU_DEP_4)
	v_fma_f32 v18, -0.5, v18, v82
	v_mul_u32_u24_e32 v73, 0xd8, v73
	s_delay_alu instid0(VALU_DEP_4) | instskip(SKIP_2) | instid1(VALU_DEP_4)
	v_fmamk_f32 v74, v86, 0xbf5db3d7, v19
	v_fmac_f32_e32 v19, 0x3f5db3d7, v86
	v_dual_add_f32 v17, v16, v143 :: v_dual_add_f32 v16, v82, v138
	v_add_lshl_u32 v82, v73, v92, 3
	v_fmamk_f32 v73, v75, 0x3f5db3d7, v18
	v_fmac_f32_e32 v18, 0xbf5db3d7, v75
	s_delay_alu instid0(VALU_DEP_4)
	v_add_f32_e32 v16, v16, v142
	ds_store_b64 v82, v[18:19] offset:1152
	v_add_f32_e32 v19, v140, v144
	ds_store_2addr_b64 v82, v[16:17], v[73:74] offset1:72
	v_sub_f32_e32 v74, v140, v144
	v_add_f32_e32 v18, v141, v145
	v_add_f32_e32 v16, v85, v141
	v_sub_f32_e32 v73, v141, v145
	s_delay_alu instid0(VALU_DEP_3) | instskip(NEXT) | instid1(VALU_DEP_3)
	v_fmac_f32_e32 v85, -0.5, v18
	v_dual_add_f32 v17, v16, v145 :: v_dual_and_b32 v18, 0xffff, v134
	v_add_f32_e32 v16, v84, v140
	v_fma_f32 v84, -0.5, v19, v84
	s_delay_alu instid0(VALU_DEP_4) | instskip(NEXT) | instid1(VALU_DEP_4)
	v_fmamk_f32 v19, v74, 0xbf5db3d7, v85
	v_mul_u32_u24_e32 v18, 0xd8, v18
	v_fmac_f32_e32 v85, 0x3f5db3d7, v74
	s_delay_alu instid0(VALU_DEP_2)
	v_add_lshl_u32 v75, v18, v136, 3
	v_fmamk_f32 v18, v73, 0x3f5db3d7, v84
	v_fmac_f32_e32 v84, 0xbf5db3d7, v73
	v_mad_u16 v73, 0xd8, v89, v129
	s_clause 0x1
	scratch_store_b32 off, v82, off offset:256
	scratch_store_b32 off, v75, off offset:260
	v_sub_f32_e32 v82, v148, v152
	ds_store_b64 v75, v[84:85] offset:1152
	v_dual_add_f32 v16, v16, v144 :: v_dual_and_b32 v73, 0xffff, v73
	ds_store_2addr_b64 v75, v[16:17], v[18:19] offset1:72
	v_add_f32_e32 v16, v79, v149
	v_dual_add_f32 v19, v149, v153 :: v_dual_add_f32 v18, v148, v152
	v_sub_f32_e32 v75, v149, v153
	s_delay_alu instid0(VALU_DEP_3) | instskip(NEXT) | instid1(VALU_DEP_3)
	v_dual_add_f32 v17, v16, v153 :: v_dual_add_f32 v16, v78, v148
	v_fma_f32 v18, -0.5, v18, v78
	s_delay_alu instid0(VALU_DEP_4) | instskip(NEXT) | instid1(VALU_DEP_2)
	v_fma_f32 v19, -0.5, v19, v79
	v_dual_fmamk_f32 v73, v75, 0x3f5db3d7, v18 :: v_dual_lshlrev_b32 v78, 3, v73
	s_delay_alu instid0(VALU_DEP_2)
	v_fmamk_f32 v74, v82, 0xbf5db3d7, v19
	v_fmac_f32_e32 v18, 0xbf5db3d7, v75
	v_fmac_f32_e32 v19, 0x3f5db3d7, v82
	v_dual_sub_f32 v75, v150, v154 :: v_dual_add_f32 v16, v16, v152
	ds_store_b64 v78, v[18:19] offset:1152
	v_mad_u16 v18, 0xd8, v91, v146
	ds_store_2addr_b64 v78, v[16:17], v[73:74] offset1:72
	v_add_f32_e32 v16, v81, v151
	v_dual_add_f32 v74, v150, v154 :: v_dual_sub_f32 v73, v151, v155
	v_dual_add_f32 v19, v151, v155 :: v_dual_and_b32 v18, 0xffff, v18
	s_delay_alu instid0(VALU_DEP_3) | instskip(SKIP_1) | instid1(VALU_DEP_4)
	v_add_f32_e32 v17, v16, v155
	v_add_f32_e32 v16, v80, v150
	v_fma_f32 v80, -0.5, v74, v80
	s_delay_alu instid0(VALU_DEP_4) | instskip(NEXT) | instid1(VALU_DEP_2)
	v_dual_fmac_f32 v81, -0.5, v19 :: v_dual_lshlrev_b32 v74, 3, v18
                                        ; implicit-def: $vgpr146
	v_fmamk_f32 v18, v73, 0x3f5db3d7, v80
	v_fmac_f32_e32 v80, 0xbf5db3d7, v73
	v_mad_u16 v73, 0xd8, v135, v147
	s_delay_alu instid0(VALU_DEP_4) | instskip(SKIP_2) | instid1(VALU_DEP_4)
	v_fmamk_f32 v19, v75, 0xbf5db3d7, v81
	v_fmac_f32_e32 v81, 0x3f5db3d7, v75
	v_sub_f32_e32 v75, v157, v161
	v_and_b32_e32 v73, 0xffff, v73
	ds_store_b64 v74, v[80:81] offset:1152
	v_dual_add_f32 v16, v16, v154 :: v_dual_lshlrev_b32 v79, 3, v73
	s_clause 0x1
	scratch_store_b32 off, v74, off offset:244
	; meta instruction
	scratch_store_b32 off, v79, off offset:248
	ds_store_2addr_b64 v74, v[16:17], v[18:19] offset1:72
	v_dual_add_f32 v18, v156, v160 :: v_dual_add_f32 v19, v157, v161
	v_add_f32_e32 v16, v131, v157
	s_delay_alu instid0(VALU_DEP_2) | instskip(NEXT) | instid1(VALU_DEP_3)
	v_fma_f32 v18, -0.5, v18, v130
	v_fma_f32 v19, -0.5, v19, v131
	s_delay_alu instid0(VALU_DEP_3) | instskip(NEXT) | instid1(VALU_DEP_3)
	v_add_f32_e32 v17, v16, v161
	v_fmamk_f32 v73, v75, 0x3f5db3d7, v18
	scratch_store_b32 off, v78, off offset:236 ; 4-byte Folded Spill
	v_sub_f32_e32 v78, v156, v160
	v_fmac_f32_e32 v18, 0xbf5db3d7, v75
	s_delay_alu instid0(VALU_DEP_2) | instskip(SKIP_4) | instid1(VALU_DEP_1)
	v_fmamk_f32 v74, v78, 0xbf5db3d7, v19
	v_fmac_f32_e32 v19, 0x3f5db3d7, v78
	ds_store_b64 v79, v[18:19] offset:1152
	v_add_f32_e32 v18, v159, v163
	v_dual_add_f32 v16, v130, v156 :: v_dual_add_f32 v19, v132, v158
	v_add_f32_e32 v16, v16, v160
	s_delay_alu instid0(VALU_DEP_2) | instskip(SKIP_3) | instid1(VALU_DEP_2)
	v_add_f32_e32 v140, v19, v162
	ds_store_2addr_b64 v79, v[16:17], v[73:74] offset1:72
	v_add_f32_e32 v17, v133, v159
	v_dual_sub_f32 v16, v159, v163 :: v_dual_fmac_f32 v133, -0.5, v18
	v_add_f32_e32 v141, v17, v163
	v_add_f32_e32 v17, v158, v162
	s_delay_alu instid0(VALU_DEP_1) | instskip(NEXT) | instid1(VALU_DEP_1)
	v_fma_f32 v132, -0.5, v17, v132
	v_dual_sub_f32 v17, v158, v162 :: v_dual_fmamk_f32 v142, v16, 0x3f5db3d7, v132
	v_fmac_f32_e32 v132, 0xbf5db3d7, v16
	v_and_b32_e32 v16, 0xffff, v137
	s_delay_alu instid0(VALU_DEP_3) | instskip(SKIP_1) | instid1(VALU_DEP_3)
	v_fmamk_f32 v143, v17, 0xbf5db3d7, v133
	v_fmac_f32_e32 v133, 0x3f5db3d7, v17
	v_lshlrev_b32_e32 v17, 3, v16
	s_clause 0x1
	scratch_store_b32 off, v87, off offset:252
	scratch_store_b32 off, v17, off offset:264
	v_add_nc_u32_e32 v16, 0x2800, v17
	ds_store_b64 v17, v[132:133] offset:11520
	ds_store_2addr_b64 v16, v[140:141], v[142:143] offset0:16 offset1:88
	global_wb scope:SCOPE_SE
	s_wait_storecnt_dscnt 0x0
	s_barrier_signal -1
	s_barrier_wait -1
	global_inv scope:SCOPE_SE
	ds_load_b64 v[138:139], v251 offset:11376
	ds_load_2addr_b64 v[164:167], v67 offset0:46 offset1:136
	ds_load_2addr_b64 v[80:83], v65 offset0:96 offset1:159
	;; [unrolled: 1-line block ×5, first 2 shown]
	ds_load_2addr_b64 v[156:159], v251 offset1:63
	ds_load_2addr_b64 v[134:137], v251 offset0:126 offset1:216
	ds_load_2addr_b64 v[64:67], v168 offset0:176 offset1:239
	;; [unrolled: 1-line block ×4, first 2 shown]
	s_and_saveexec_b32 s0, vcc_lo
	s_cbranch_execz .LBB0_3
; %bb.2:
	v_add_nc_u32_e32 v16, 0x1300, v251
	ds_load_2addr_b64 v[144:147], v16 offset0:13 offset1:229
	v_add_nc_u32_e32 v16, 0x500, v251
	ds_load_2addr_b64 v[152:155], v76 offset0:29 offset1:245
	ds_load_b64 v[249:250], v251 offset:11880
	ds_load_2addr_b64 v[140:143], v16 offset0:29 offset1:245
	s_wait_dscnt 0x3
	v_dual_mov_b32 v133, v145 :: v_dual_mov_b32 v132, v144
.LBB0_3:
	s_wait_alu 0xfffe
	s_or_b32 exec_lo, exec_lo, s0
	v_mad_co_u64_u32 v[144:145], null, v172, 48, s[10:11]
	s_clause 0x1
	global_load_b128 v[16:19], v[144:145], off offset:1712
	global_load_b128 v[88:91], v[144:145], off offset:1728
	s_wait_loadcnt_dscnt 0x102
	v_mul_f32_e32 v76, v65, v19
	v_mul_f32_e32 v188, v64, v19
	s_wait_loadcnt 0x0
	v_mul_f32_e32 v192, v80, v91
	v_mul_f32_e32 v196, v166, v89
	v_fma_f32 v187, v64, v18, -v76
	s_clause 0x1
	global_load_b128 v[76:79], v[144:145], off offset:4736
	global_load_b128 v[92:95], v[144:145], off offset:1744
	v_fmac_f32_e32 v188, v65, v18
	v_fmac_f32_e32 v192, v81, v90
	s_wait_loadcnt 0x1
	v_mul_f32_e32 v64, v67, v79
	v_mul_f32_e32 v180, v66, v79
	s_wait_loadcnt 0x0
	v_mul_f32_e32 v198, v130, v93
	v_mul_f32_e32 v194, v72, v95
	s_wait_dscnt 0x1
	v_mul_f32_e32 v186, v168, v77
	v_fma_f32 v179, v66, v78, -v64
	v_mul_f32_e32 v64, v81, v91
	v_fmac_f32_e32 v180, v67, v78
	v_fmac_f32_e32 v198, v131, v92
	;; [unrolled: 1-line block ×3, first 2 shown]
	s_delay_alu instid0(VALU_DEP_4)
	v_fma_f32 v191, v80, v90, -v64
	s_clause 0x1
	global_load_b128 v[84:87], v[144:145], off offset:4752
	global_load_b128 v[64:67], v[144:145], off offset:4768
	s_wait_loadcnt_dscnt 0x0
	v_dual_mul_f32 v182, v82, v87 :: v_dual_mul_f32 v199, v160, v65
	v_mul_f32_e32 v80, v83, v87
	v_mul_f32_e32 v184, v74, v67
	;; [unrolled: 1-line block ×3, first 2 shown]
	s_delay_alu instid0(VALU_DEP_4) | instskip(NEXT) | instid1(VALU_DEP_4)
	v_dual_fmac_f32 v182, v83, v86 :: v_dual_fmac_f32 v199, v161, v64
	v_fma_f32 v181, v82, v86, -v80
	v_mul_f32_e32 v80, v73, v95
	v_fmac_f32_e32 v184, v75, v66
	v_fmac_f32_e32 v186, v169, v76
	s_delay_alu instid0(VALU_DEP_3) | instskip(SKIP_1) | instid1(VALU_DEP_1)
	v_fma_f32 v193, v72, v94, -v80
	v_mul_f32_e32 v72, v75, v67
	v_fma_f32 v183, v74, v66, -v72
	v_mul_f32_e32 v72, v169, v77
	s_delay_alu instid0(VALU_DEP_1)
	v_fma_f32 v185, v168, v76, -v72
	s_clause 0x1
	global_load_b128 v[72:75], v[144:145], off offset:7760
	global_load_b128 v[80:83], v[144:145], off offset:7776
	scratch_store_b32 off, v172, off offset:8 ; 4-byte Folded Spill
	v_add_f32_e32 v208, v185, v183
	s_wait_loadcnt 0x1
	v_mul_f32_e32 v168, v171, v73
	v_mul_f32_e32 v169, v170, v73
	s_delay_alu instid0(VALU_DEP_2) | instskip(SKIP_1) | instid1(VALU_DEP_3)
	v_fma_f32 v168, v170, v72, -v168
	v_mul_f32_e32 v170, v167, v89
	v_fmac_f32_e32 v169, v171, v72
	s_wait_loadcnt 0x0
	v_mul_f32_e32 v171, v128, v83
	v_add_f32_e32 v213, v180, v199
	v_fma_f32 v195, v166, v88, -v170
	v_mul_f32_e32 v166, v165, v75
	s_delay_alu instid0(VALU_DEP_2) | instskip(NEXT) | instid1(VALU_DEP_2)
	v_dual_fmac_f32 v171, v129, v82 :: v_dual_add_f32 v202, v195, v191
	v_fma_f32 v166, v164, v74, -v166
	v_mul_f32_e32 v164, v164, v75
	s_delay_alu instid0(VALU_DEP_1) | instskip(SKIP_2) | instid1(VALU_DEP_2)
	v_fmac_f32_e32 v164, v165, v74
	v_mul_f32_e32 v165, v149, v85
	v_fmac_f32_e32 v190, v149, v84
	v_fma_f32 v189, v148, v84, -v165
	v_mul_f32_e32 v148, v151, v81
	s_delay_alu instid0(VALU_DEP_2) | instskip(NEXT) | instid1(VALU_DEP_2)
	v_add_f32_e32 v210, v189, v181
	v_fma_f32 v165, v150, v80, -v148
	v_mul_f32_e32 v148, v131, v93
	s_delay_alu instid0(VALU_DEP_1) | instskip(SKIP_1) | instid1(VALU_DEP_1)
	v_fma_f32 v197, v130, v92, -v148
	v_mul_f32_e32 v130, v129, v83
	v_fma_f32 v170, v128, v82, -v130
	v_subrev_nc_u32_e32 v128, 27, v172
	v_dual_fmac_f32 v196, v167, v88 :: v_dual_mul_f32 v167, v150, v81
	v_add_f32_e32 v205, v188, v198
	s_delay_alu instid0(VALU_DEP_4) | instskip(NEXT) | instid1(VALU_DEP_3)
	v_add_f32_e32 v253, v165, v170
	v_dual_cndmask_b32 v128, v128, v178 :: v_dual_fmac_f32 v167, v151, v80
	s_delay_alu instid0(VALU_DEP_1) | instskip(SKIP_1) | instid1(VALU_DEP_3)
	v_mul_i32_i24_e32 v129, 48, v128
	v_mul_hi_i32_i24_e32 v128, 48, v128
	v_add_f32_e32 v252, v167, v171
	s_delay_alu instid0(VALU_DEP_3) | instskip(SKIP_1) | instid1(VALU_DEP_3)
	v_add_co_u32 v172, s0, s10, v129
	s_wait_alu 0xf1ff
	v_add_co_ci_u32_e64 v173, s0, s11, v128, s0
	v_mul_f32_e32 v128, v161, v65
	v_dual_mul_f32 v161, v136, v17 :: v_dual_add_f32 v214, v190, v182
	s_delay_alu instid0(VALU_DEP_2)
	v_fma_f32 v178, v160, v64, -v128
	s_clause 0x1
	global_load_b128 v[148:151], v[144:145], off offset:7792
	global_load_b128 v[128:131], v[172:173], off offset:1712
	v_fmac_f32_e32 v161, v137, v16
	v_add_f32_e32 v209, v179, v178
	s_wait_loadcnt 0x1
	v_mul_f32_e32 v144, v163, v149
	v_dual_mul_f32 v201, v162, v149 :: v_dual_add_f32 v206, v196, v192
	v_mul_f32_e32 v217, v138, v151
	s_delay_alu instid0(VALU_DEP_3) | instskip(NEXT) | instid1(VALU_DEP_3)
	v_fma_f32 v200, v162, v148, -v144
	v_dual_mul_f32 v144, v137, v17 :: v_dual_fmac_f32 v201, v163, v148
	v_add_f32_e32 v163, v187, v197
	s_delay_alu instid0(VALU_DEP_3) | instskip(NEXT) | instid1(VALU_DEP_3)
	v_dual_fmac_f32 v217, v139, v150 :: v_dual_add_f32 v254, v166, v200
	v_fma_f32 v160, v136, v16, -v144
	s_delay_alu instid0(VALU_DEP_2) | instskip(NEXT) | instid1(VALU_DEP_2)
	v_add_f32_e32 v218, v169, v217
	v_add_f32_e32 v162, v160, v193
	s_delay_alu instid0(VALU_DEP_1) | instskip(NEXT) | instid1(VALU_DEP_1)
	v_add_f32_e32 v136, v163, v162
	v_dual_add_f32 v203, v202, v136 :: v_dual_add_f32 v204, v161, v194
	s_delay_alu instid0(VALU_DEP_1) | instskip(NEXT) | instid1(VALU_DEP_1)
	v_add_f32_e32 v136, v205, v204
	v_add_f32_e32 v207, v206, v136
	;; [unrolled: 1-line block ×3, first 2 shown]
	s_delay_alu instid0(VALU_DEP_2) | instskip(NEXT) | instid1(VALU_DEP_2)
	v_dual_add_f32 v212, v186, v184 :: v_dual_add_f32 v137, v157, v207
	v_add_f32_e32 v211, v210, v136
	s_delay_alu instid0(VALU_DEP_2) | instskip(NEXT) | instid1(VALU_DEP_2)
	v_add_f32_e32 v136, v213, v212
	v_add_f32_e32 v144, v158, v211
	s_delay_alu instid0(VALU_DEP_2) | instskip(SKIP_1) | instid1(VALU_DEP_2)
	v_dual_add_f32 v215, v214, v136 :: v_dual_add_f32 v136, v156, v203
	v_mul_f32_e32 v156, v139, v151
	v_add_f32_e32 v145, v159, v215
	v_sub_f32_e32 v159, v161, v194
	s_delay_alu instid0(VALU_DEP_3)
	v_fma_f32 v216, v138, v150, -v156
	v_sub_f32_e32 v161, v192, v196
	v_add_f32_e32 v219, v164, v201
	v_sub_f32_e32 v158, v160, v193
	v_dual_sub_f32 v160, v191, v195 :: v_dual_sub_f32 v191, v206, v205
	v_add_f32_e32 v220, v168, v216
	s_delay_alu instid0(VALU_DEP_1) | instskip(NEXT) | instid1(VALU_DEP_1)
	v_add_f32_e32 v138, v254, v220
	v_add_f32_e32 v255, v253, v138
	;; [unrolled: 1-line block ×3, first 2 shown]
	s_delay_alu instid0(VALU_DEP_1) | instskip(SKIP_2) | instid1(VALU_DEP_2)
	v_add_f32_e32 v174, v252, v138
	v_sub_f32_e32 v138, v187, v197
	v_sub_f32_e32 v187, v163, v162
	;; [unrolled: 1-line block ×3, first 2 shown]
	v_add_f32_e32 v156, v160, v138
	s_delay_alu instid0(VALU_DEP_2) | instskip(SKIP_2) | instid1(VALU_DEP_4)
	v_dual_sub_f32 v192, v138, v158 :: v_dual_mul_f32 v197, 0xbf08b237, v157
	v_sub_f32_e32 v163, v202, v163
	v_sub_f32_e32 v139, v188, v198
	v_dual_add_f32 v195, v156, v158 :: v_dual_fmamk_f32 v198, v203, 0xbf955555, v136
	s_delay_alu instid0(VALU_DEP_4) | instskip(NEXT) | instid1(VALU_DEP_3)
	v_fma_f32 v157, 0x3f5ff5aa, v192, -v197
	v_dual_fmamk_f32 v203, v207, 0xbf955555, v137 :: v_dual_add_f32 v138, v161, v139
	v_sub_f32_e32 v193, v161, v139
	v_sub_f32_e32 v194, v139, v159
	v_mul_f32_e32 v139, 0x3d64c772, v191
	v_dual_fmac_f32 v157, 0x3ee1c552, v195 :: v_dual_sub_f32 v188, v205, v204
	s_delay_alu instid0(VALU_DEP_4) | instskip(SKIP_1) | instid1(VALU_DEP_3)
	v_dual_add_f32 v196, v138, v159 :: v_dual_mul_f32 v193, 0xbf08b237, v193
	v_sub_f32_e32 v162, v162, v202
	v_fma_f32 v139, 0x3f3bfb3b, v188, -v139
	s_delay_alu instid0(VALU_DEP_3) | instskip(NEXT) | instid1(VALU_DEP_2)
	v_fma_f32 v156, 0x3f5ff5aa, v194, -v193
	v_dual_mul_f32 v162, 0x3f4a47b2, v162 :: v_dual_add_f32 v207, v139, v203
	s_delay_alu instid0(VALU_DEP_1) | instskip(SKIP_1) | instid1(VALU_DEP_1)
	v_dual_fmac_f32 v156, 0x3ee1c552, v196 :: v_dual_add_f32 v139, v157, v207
	v_dual_mul_f32 v138, 0x3d64c772, v163 :: v_dual_sub_f32 v157, v207, v157
	v_fma_f32 v138, 0x3f3bfb3b, v187, -v138
	s_delay_alu instid0(VALU_DEP_1) | instskip(SKIP_3) | instid1(VALU_DEP_4)
	v_add_f32_e32 v205, v138, v198
	v_sub_f32_e32 v202, v204, v206
	v_sub_f32_e32 v204, v158, v160
	v_mul_f32_e32 v158, 0x3f5ff5aa, v192
	v_sub_f32_e32 v138, v205, v156
	v_add_f32_e32 v156, v156, v205
	v_sub_f32_e32 v205, v159, v161
	v_mul_f32_e32 v159, 0x3f5ff5aa, v194
	v_mul_f32_e32 v192, 0x3f4a47b2, v202
	v_fma_f32 v161, 0xbeae86e6, v204, -v158
	v_fma_f32 v158, 0xbf3bfb3b, v187, -v162
	v_fmamk_f32 v162, v163, 0x3d64c772, v162
	v_fma_f32 v160, 0xbeae86e6, v205, -v159
	v_fma_f32 v159, 0xbf3bfb3b, v188, -v192
	v_fmac_f32_e32 v161, 0x3ee1c552, v195
	v_add_f32_e32 v187, v158, v198
	v_fmamk_f32 v163, v191, 0x3d64c772, v192
	v_fmac_f32_e32 v160, 0x3ee1c552, v196
	v_dual_add_f32 v188, v159, v203 :: v_dual_add_f32 v191, v162, v198
	s_delay_alu instid0(VALU_DEP_3) | instskip(NEXT) | instid1(VALU_DEP_3)
	v_add_f32_e32 v192, v163, v203
	v_add_f32_e32 v158, v160, v187
	s_delay_alu instid0(VALU_DEP_3) | instskip(SKIP_2) | instid1(VALU_DEP_1)
	v_dual_sub_f32 v159, v188, v161 :: v_dual_sub_f32 v160, v187, v160
	v_dual_add_f32 v161, v161, v188 :: v_dual_fmamk_f32 v188, v204, 0x3eae86e6, v197
	v_fmamk_f32 v187, v205, 0x3eae86e6, v193
	v_dual_fmac_f32 v188, 0x3ee1c552, v195 :: v_dual_fmac_f32 v187, 0x3ee1c552, v196
	s_delay_alu instid0(VALU_DEP_1)
	v_dual_sub_f32 v163, v192, v188 :: v_dual_add_f32 v162, v187, v191
	v_dual_sub_f32 v187, v191, v187 :: v_dual_add_f32 v188, v188, v192
	ds_store_b64 v251, v[162:163] offset:1728
	ds_store_b64 v251, v[158:159] offset:3456
	ds_store_b64 v251, v[138:139] offset:5184
	ds_store_b64 v251, v[156:157] offset:6912
	ds_store_b64 v251, v[160:161] offset:8640
	ds_store_b64 v251, v[187:188] offset:10368
	ds_store_2addr_b64 v251, v[136:137], v[144:145] offset1:63
	v_fmamk_f32 v159, v215, 0xbf955555, v145
	v_sub_f32_e32 v145, v186, v184
	v_add_f32_e32 v135, v135, v174
	v_fmamk_f32 v158, v211, 0xbf955555, v144
	v_sub_f32_e32 v144, v185, v183
	v_dual_sub_f32 v136, v179, v178 :: v_dual_sub_f32 v137, v180, v199
	v_dual_sub_f32 v156, v181, v189 :: v_dual_sub_f32 v157, v182, v190
	v_add_f32_e32 v134, v134, v255
	v_sub_f32_e32 v161, v210, v209
	v_sub_f32_e32 v163, v214, v213
	s_delay_alu instid0(VALU_DEP_4)
	v_sub_f32_e32 v139, v156, v136
	v_add_f32_e32 v138, v156, v136
	v_sub_f32_e32 v178, v136, v144
	v_add_f32_e32 v136, v157, v137
	v_sub_f32_e32 v179, v157, v137
	v_sub_f32_e32 v160, v209, v208
	;; [unrolled: 1-line block ×4, first 2 shown]
	v_dual_add_f32 v182, v136, v145 :: v_dual_mul_f32 v183, 0xbf08b237, v139
	v_mul_f32_e32 v179, 0xbf08b237, v179
	v_dual_mul_f32 v136, 0x3d64c772, v161 :: v_dual_mul_f32 v137, 0x3d64c772, v163
	v_add_f32_e32 v181, v138, v144
	s_delay_alu instid0(VALU_DEP_4) | instskip(NEXT) | instid1(VALU_DEP_4)
	v_fma_f32 v139, 0x3f5ff5aa, v178, -v183
	v_fma_f32 v138, 0x3f5ff5aa, v180, -v179
	s_delay_alu instid0(VALU_DEP_4) | instskip(SKIP_1) | instid1(VALU_DEP_4)
	v_fma_f32 v136, 0x3f3bfb3b, v160, -v136
	v_fma_f32 v137, 0x3f3bfb3b, v162, -v137
	v_dual_sub_f32 v186, v144, v156 :: v_dual_fmac_f32 v139, 0x3ee1c552, v181
	s_delay_alu instid0(VALU_DEP_4) | instskip(NEXT) | instid1(VALU_DEP_3)
	v_fmac_f32_e32 v138, 0x3ee1c552, v182
	v_dual_add_f32 v184, v136, v158 :: v_dual_add_f32 v185, v137, v159
	v_sub_f32_e32 v187, v145, v157
	s_delay_alu instid0(VALU_DEP_2) | instskip(NEXT) | instid1(VALU_DEP_3)
	v_dual_fmamk_f32 v157, v186, 0x3eae86e6, v183 :: v_dual_sub_f32 v136, v184, v138
	v_dual_add_f32 v137, v139, v185 :: v_dual_add_f32 v138, v138, v184
	v_dual_sub_f32 v139, v185, v139 :: v_dual_sub_f32 v184, v208, v210
	s_delay_alu instid0(VALU_DEP_4) | instskip(NEXT) | instid1(VALU_DEP_4)
	v_dual_sub_f32 v185, v212, v214 :: v_dual_fmamk_f32 v156, v187, 0x3eae86e6, v179
	v_fmac_f32_e32 v157, 0x3ee1c552, v181
	s_delay_alu instid0(VALU_DEP_2) | instskip(NEXT) | instid1(VALU_DEP_3)
	v_dual_mul_f32 v184, 0x3f4a47b2, v184 :: v_dual_mul_f32 v185, 0x3f4a47b2, v185
	v_fmac_f32_e32 v156, 0x3ee1c552, v182
	s_delay_alu instid0(VALU_DEP_2) | instskip(SKIP_2) | instid1(VALU_DEP_3)
	v_dual_fmamk_f32 v144, v161, 0x3d64c772, v184 :: v_dual_fmamk_f32 v145, v163, 0x3d64c772, v185
	v_fma_f32 v160, 0xbf3bfb3b, v160, -v184
	v_fma_f32 v162, 0xbf3bfb3b, v162, -v185
	v_add_f32_e32 v161, v144, v158
	s_delay_alu instid0(VALU_DEP_3) | instskip(NEXT) | instid1(VALU_DEP_3)
	v_dual_add_f32 v163, v145, v159 :: v_dual_add_f32 v160, v160, v158
	v_add_f32_e32 v162, v162, v159
	s_delay_alu instid0(VALU_DEP_3) | instskip(NEXT) | instid1(VALU_DEP_3)
	v_add_f32_e32 v144, v156, v161
	v_dual_sub_f32 v145, v163, v157 :: v_dual_sub_f32 v156, v161, v156
	v_add_f32_e32 v157, v157, v163
	v_mul_f32_e32 v161, 0x3f5ff5aa, v178
	v_mul_f32_e32 v163, 0x3f5ff5aa, v180
	s_delay_alu instid0(VALU_DEP_2) | instskip(NEXT) | instid1(VALU_DEP_2)
	v_fma_f32 v161, 0xbeae86e6, v186, -v161
	v_fma_f32 v163, 0xbeae86e6, v187, -v163
	s_delay_alu instid0(VALU_DEP_2) | instskip(NEXT) | instid1(VALU_DEP_2)
	v_fmac_f32_e32 v161, 0x3ee1c552, v181
	v_fmac_f32_e32 v163, 0x3ee1c552, v182
	s_delay_alu instid0(VALU_DEP_1)
	v_dual_add_f32 v159, v161, v162 :: v_dual_sub_f32 v158, v160, v163
	v_dual_add_f32 v160, v163, v160 :: v_dual_sub_f32 v161, v162, v161
	ds_store_b64 v251, v[138:139] offset:7416
	ds_store_b64 v251, v[158:159] offset:9144
	;; [unrolled: 1-line block ×5, first 2 shown]
	v_fmamk_f32 v156, v255, 0xbf955555, v134
	ds_store_b64 v251, v[134:135] offset:1008
	v_sub_f32_e32 v160, v166, v200
	v_sub_f32_e32 v134, v170, v165
	;; [unrolled: 1-line block ×4, first 2 shown]
	v_fmamk_f32 v157, v174, 0xbf955555, v135
	v_sub_f32_e32 v135, v171, v167
	v_sub_f32_e32 v139, v134, v160
	v_add_f32_e32 v138, v134, v160
	v_dual_sub_f32 v164, v158, v134 :: v_dual_sub_f32 v159, v169, v217
	v_sub_f32_e32 v162, v253, v254
	s_delay_alu instid0(VALU_DEP_3) | instskip(SKIP_1) | instid1(VALU_DEP_2)
	v_dual_mul_f32 v168, 0xbf08b237, v139 :: v_dual_add_f32 v167, v138, v158
	v_dual_sub_f32 v137, v218, v252 :: v_dual_add_f32 v134, v135, v161
	v_dual_sub_f32 v165, v135, v161 :: v_dual_fmamk_f32 v174, v164, 0x3eae86e6, v168
	v_sub_f32_e32 v163, v252, v219
	v_sub_f32_e32 v166, v159, v135
	s_delay_alu instid0(VALU_DEP_4) | instskip(SKIP_4) | instid1(VALU_DEP_2)
	v_add_f32_e32 v169, v134, v159
	v_mul_f32_e32 v171, 0x3f4a47b2, v137
	v_fmac_f32_e32 v174, 0x3ee1c552, v167
	v_sub_f32_e32 v136, v220, v253
	v_mul_f32_e32 v165, 0xbf08b237, v165
	v_dual_sub_f32 v159, v161, v159 :: v_dual_mul_f32 v170, 0x3f4a47b2, v136
	s_delay_alu instid0(VALU_DEP_2) | instskip(SKIP_1) | instid1(VALU_DEP_3)
	v_fmamk_f32 v178, v166, 0x3eae86e6, v165
	v_add_nc_u32_e32 v136, 0x800, v251
	v_fmamk_f32 v134, v162, 0x3d64c772, v170
	s_delay_alu instid0(VALU_DEP_1) | instskip(SKIP_1) | instid1(VALU_DEP_1)
	v_dual_fmac_f32 v178, 0x3ee1c552, v169 :: v_dual_add_f32 v179, v134, v156
	v_fmamk_f32 v134, v163, 0x3d64c772, v171
	v_add_f32_e32 v180, v134, v157
	s_delay_alu instid0(VALU_DEP_1) | instskip(SKIP_4) | instid1(VALU_DEP_2)
	v_dual_add_f32 v134, v178, v179 :: v_dual_sub_f32 v135, v180, v174
	ds_store_2addr_b64 v136, v[144:145], v[134:135] offset0:23 offset1:86
	s_wait_loadcnt 0x0
	v_mul_f32_e32 v134, v133, v131
	v_mul_f32_e32 v145, v132, v131
	v_fma_f32 v144, v132, v130, -v134
	s_delay_alu instid0(VALU_DEP_2)
	v_fmac_f32_e32 v145, v133, v130
	s_clause 0x1
	global_load_b128 v[132:135], v[172:173], off offset:1728
	global_load_b128 v[136:139], v[172:173], off offset:1744
	s_wait_loadcnt 0x1
	v_dual_mul_f32 v173, v146, v133 :: v_dual_mul_f32 v182, v152, v135
	v_mul_f32_e32 v172, v147, v133
	s_wait_loadcnt 0x0
	v_mul_f32_e32 v184, v154, v137
	s_delay_alu instid0(VALU_DEP_3) | instskip(SKIP_2) | instid1(VALU_DEP_4)
	v_dual_mul_f32 v186, v249, v139 :: v_dual_fmac_f32 v173, v147, v132
	v_fmac_f32_e32 v182, v153, v134
	v_fma_f32 v172, v146, v132, -v172
	v_fmac_f32_e32 v184, v155, v136
	s_delay_alu instid0(VALU_DEP_4) | instskip(NEXT) | instid1(VALU_DEP_4)
	v_dual_fmac_f32 v186, v250, v138 :: v_dual_mul_f32 v147, 0x3d64c772, v163
	v_add_f32_e32 v193, v173, v182
	v_mul_f32_e32 v146, v153, v135
	s_delay_alu instid0(VALU_DEP_4) | instskip(NEXT) | instid1(VALU_DEP_2)
	v_dual_add_f32 v192, v145, v184 :: v_dual_sub_f32 v163, v182, v173
	v_fma_f32 v181, v152, v134, -v146
	v_mul_f32_e32 v146, v155, v137
	v_fma_f32 v152, 0x3f5ff5aa, v159, -v165
	v_mul_f32_e32 v159, 0x3f5ff5aa, v159
	v_sub_f32_e32 v155, v219, v218
	v_add_f32_e32 v189, v172, v181
	v_fma_f32 v183, v154, v136, -v146
	v_mul_f32_e32 v146, v250, v139
	v_fma_f32 v159, 0xbeae86e6, v166, -v159
	v_fma_f32 v147, 0x3f3bfb3b, v155, -v147
	v_fma_f32 v155, 0xbf3bfb3b, v155, -v171
	v_sub_f32_e32 v154, v254, v220
	v_fma_f32 v185, v249, v138, -v146
	v_mul_f32_e32 v146, v143, v129
	v_dual_fmac_f32 v159, 0x3ee1c552, v169 :: v_dual_sub_f32 v158, v160, v158
	v_add_f32_e32 v161, v147, v157
	v_add_f32_e32 v157, v155, v157
	s_delay_alu instid0(VALU_DEP_4)
	v_fma_f32 v187, v142, v128, -v146
	v_mul_f32_e32 v142, v142, v129
	v_fma_f32 v153, 0x3f5ff5aa, v158, -v168
	v_mul_f32_e32 v158, 0x3f5ff5aa, v158
	v_fmac_f32_e32 v152, 0x3ee1c552, v169
	v_add_f32_e32 v188, v187, v185
	v_dual_fmac_f32 v142, v143, v128 :: v_dual_add_f32 v143, v144, v183
	v_fmac_f32_e32 v153, 0x3ee1c552, v167
	v_fma_f32 v158, 0xbeae86e6, v164, -v158
	s_delay_alu instid0(VALU_DEP_3) | instskip(NEXT) | instid1(VALU_DEP_3)
	v_dual_add_f32 v191, v142, v186 :: v_dual_add_f32 v146, v143, v188
	v_add_f32_e32 v147, v153, v161
	v_sub_f32_e32 v153, v161, v153
	v_dual_sub_f32 v161, v142, v186 :: v_dual_sub_f32 v142, v144, v183
	s_delay_alu instid0(VALU_DEP_4) | instskip(SKIP_4) | instid1(VALU_DEP_4)
	v_add_f32_e32 v190, v189, v146
	v_add_f32_e32 v146, v192, v191
	v_dual_sub_f32 v164, v143, v188 :: v_dual_sub_f32 v165, v189, v143
	v_fmac_f32_e32 v158, 0x3ee1c552, v167
	v_sub_f32_e32 v144, v145, v184
	v_add_f32_e32 v194, v193, v146
	v_mul_f32_e32 v146, 0x3d64c772, v162
	v_sub_f32_e32 v162, v181, v172
	v_sub_f32_e32 v155, v157, v158
	v_dual_add_f32 v157, v158, v157 :: v_dual_sub_f32 v158, v179, v178
	s_delay_alu instid0(VALU_DEP_4) | instskip(NEXT) | instid1(VALU_DEP_4)
	v_fma_f32 v146, 0x3f3bfb3b, v154, -v146
	v_add_f32_e32 v143, v162, v142
	v_fma_f32 v154, 0xbf3bfb3b, v154, -v170
	v_sub_f32_e32 v169, v163, v144
	v_sub_f32_e32 v145, v162, v142
	v_dual_add_f32 v160, v146, v156 :: v_dual_add_f32 v141, v141, v194
	s_delay_alu instid0(VALU_DEP_4) | instskip(NEXT) | instid1(VALU_DEP_3)
	v_add_f32_e32 v156, v154, v156
	v_dual_sub_f32 v167, v193, v192 :: v_dual_mul_f32 v178, 0xbf08b237, v145
	s_delay_alu instid0(VALU_DEP_3) | instskip(SKIP_1) | instid1(VALU_DEP_4)
	v_sub_f32_e32 v146, v160, v152
	v_add_f32_e32 v152, v152, v160
	v_add_f32_e32 v154, v159, v156
	v_dual_sub_f32 v156, v156, v159 :: v_dual_add_f32 v159, v174, v180
	v_sub_f32_e32 v160, v187, v185
	ds_store_b64 v251, v[154:155] offset:4464
	ds_store_b64 v251, v[146:147] offset:6192
	;; [unrolled: 1-line block ×5, first 2 shown]
	v_sub_f32_e32 v147, v191, v193
	v_sub_f32_e32 v170, v144, v161
	v_sub_f32_e32 v168, v142, v160
	v_dual_sub_f32 v152, v160, v162 :: v_dual_add_f32 v171, v143, v160
	s_delay_alu instid0(VALU_DEP_4) | instskip(SKIP_1) | instid1(VALU_DEP_4)
	v_mul_f32_e32 v147, 0x3f4a47b2, v147
	v_fmamk_f32 v173, v194, 0xbf955555, v141
	v_mul_f32_e32 v155, 0x3f5ff5aa, v168
	s_delay_alu instid0(VALU_DEP_4)
	v_fmamk_f32 v154, v152, 0x3eae86e6, v178
	v_mul_f32_e32 v169, 0xbf08b237, v169
	v_fmamk_f32 v159, v167, 0x3d64c772, v147
	v_sub_f32_e32 v153, v161, v163
	v_fma_f32 v156, 0xbeae86e6, v152, -v155
	v_mul_f32_e32 v152, 0x3f5ff5aa, v170
	s_delay_alu instid0(VALU_DEP_4) | instskip(NEXT) | instid1(VALU_DEP_4)
	v_dual_fmac_f32 v154, 0x3ee1c552, v171 :: v_dual_add_f32 v159, v159, v173
	v_dual_fmamk_f32 v155, v153, 0x3eae86e6, v169 :: v_dual_add_f32 v140, v140, v190
	s_delay_alu instid0(VALU_DEP_3) | instskip(SKIP_1) | instid1(VALU_DEP_4)
	v_fma_f32 v158, 0xbeae86e6, v153, -v152
	v_mul_f32_e32 v143, 0x3d64c772, v165
	v_dual_add_f32 v153, v154, v159 :: v_dual_sub_f32 v146, v188, v189
	s_delay_alu instid0(VALU_DEP_4) | instskip(SKIP_1) | instid1(VALU_DEP_4)
	v_fmamk_f32 v172, v190, 0xbf955555, v140
	v_add_f32_e32 v142, v163, v144
	v_fma_f32 v143, 0x3f3bfb3b, v164, -v143
	v_sub_f32_e32 v166, v192, v191
	v_mul_f32_e32 v146, 0x3f4a47b2, v146
	v_mul_f32_e32 v144, 0x3d64c772, v167
	v_add_f32_e32 v174, v142, v161
	v_fma_f32 v180, 0x3f5ff5aa, v168, -v178
	v_fma_f32 v147, 0xbf3bfb3b, v166, -v147
	v_fmamk_f32 v157, v165, 0x3d64c772, v146
	v_fma_f32 v146, 0xbf3bfb3b, v164, -v146
	v_fma_f32 v144, 0x3f3bfb3b, v166, -v144
	v_dual_add_f32 v145, v143, v172 :: v_dual_fmac_f32 v180, 0x3ee1c552, v171
	s_delay_alu instid0(VALU_DEP_4) | instskip(NEXT) | instid1(VALU_DEP_4)
	v_add_f32_e32 v157, v157, v172
	v_add_f32_e32 v160, v146, v172
	scratch_load_b32 v146, off, off offset:452 th:TH_LOAD_LU ; 4-byte Folded Reload
	v_add_f32_e32 v179, v144, v173
	v_fma_f32 v144, 0x3f5ff5aa, v170, -v169
	v_dual_add_f32 v161, v147, v173 :: v_dual_fmac_f32 v156, 0x3ee1c552, v171
	v_fmac_f32_e32 v155, 0x3ee1c552, v174
	v_fmac_f32_e32 v158, 0x3ee1c552, v174
	s_delay_alu instid0(VALU_DEP_4) | instskip(NEXT) | instid1(VALU_DEP_3)
	v_dual_fmac_f32 v144, 0x3ee1c552, v174 :: v_dual_add_f32 v143, v180, v179
	v_dual_add_f32 v147, v156, v161 :: v_dual_sub_f32 v152, v157, v155
	s_delay_alu instid0(VALU_DEP_2)
	v_sub_f32_e32 v142, v145, v144
	v_dual_add_f32 v144, v144, v145 :: v_dual_sub_f32 v145, v179, v180
	s_wait_loadcnt 0x0
	v_lshlrev_b32_e32 v165, 3, v146
	scratch_load_b32 v146, off, off offset:448 th:TH_LOAD_LU ; 4-byte Folded Reload
	s_wait_loadcnt 0x0
	v_lshlrev_b32_e32 v164, 4, v146
	scratch_load_b32 v146, off, off offset:456 th:TH_LOAD_LU ; 4-byte Folded Reload
	;; [unrolled: 3-line block ×3, first 2 shown]
	s_wait_loadcnt 0x0
	v_lshlrev_b32_e32 v162, 4, v146
	v_sub_f32_e32 v146, v160, v158
	s_and_saveexec_b32 s0, vcc_lo
	s_cbranch_execz .LBB0_5
; %bb.4:
	v_dual_sub_f32 v161, v161, v156 :: v_dual_sub_f32 v156, v159, v154
	v_dual_add_f32 v160, v158, v160 :: v_dual_add_f32 v155, v155, v157
	v_add_nc_u32_e32 v154, 0x500, v251
	v_add_nc_u32_e32 v157, 0x1300, v251
	;; [unrolled: 1-line block ×3, first 2 shown]
	ds_store_2addr_b64 v154, v[140:141], v[155:156] offset0:29 offset1:245
	ds_store_2addr_b64 v157, v[160:161], v[142:143] offset0:13 offset1:229
	;; [unrolled: 1-line block ×3, first 2 shown]
	ds_store_b64 v251, v[152:153] offset:11880
.LBB0_5:
	s_wait_alu 0xfffe
	s_or_b32 exec_lo, exec_lo, s0
	global_wb scope:SCOPE_SE
	s_wait_storecnt_dscnt 0x0
	s_barrier_signal -1
	s_barrier_wait -1
	global_inv scope:SCOPE_SE
	scratch_load_b32 v218, off, off offset:8 ; 4-byte Folded Reload
	global_load_b64 v[140:141], v[247:248], off offset:12096
	s_add_nc_u64 s[0:1], s[8:9], 0x2f40
	s_wait_loadcnt 0x1
	v_lshlrev_b32_e32 v174, 3, v218
	s_clause 0x2
	global_load_b64 v[158:159], v174, s[0:1] offset:504
	global_load_b64 v[160:161], v174, s[0:1] offset:1008
	;; [unrolled: 1-line block ×3, first 2 shown]
	ds_load_2addr_b64 v[154:157], v251 offset1:63
	s_wait_loadcnt_dscnt 0x300
	v_mul_f32_e32 v169, v154, v141
	v_mul_f32_e32 v168, v155, v141
	s_delay_alu instid0(VALU_DEP_2) | instskip(SKIP_2) | instid1(VALU_DEP_3)
	v_fmac_f32_e32 v169, v155, v140
	s_wait_loadcnt 0x2
	v_mul_f32_e32 v171, v156, v159
	v_fma_f32 v168, v154, v140, -v168
	v_mul_f32_e32 v140, v157, v159
	s_delay_alu instid0(VALU_DEP_3)
	v_fmac_f32_e32 v171, v157, v158
	ds_store_b64 v251, v[168:169]
	v_fma_f32 v170, v156, v158, -v140
	v_add_nc_u32_e32 v140, 0x1400, v251
	s_clause 0x3
	global_load_b64 v[158:159], v174, s[0:1] offset:6048
	global_load_b64 v[168:169], v174, s[0:1] offset:6552
	;; [unrolled: 1-line block ×4, first 2 shown]
	ds_load_2addr_b64 v[154:157], v140 offset0:116 offset1:179
	s_wait_loadcnt_dscnt 0x300
	v_mul_f32_e32 v141, v155, v159
	v_mul_f32_e32 v181, v154, v159
	s_wait_loadcnt 0x2
	v_mul_f32_e32 v183, v156, v169
	v_add_nc_u32_e32 v159, 0x400, v251
	v_fma_f32 v180, v154, v158, -v141
	v_mul_f32_e32 v141, v157, v169
	v_fmac_f32_e32 v181, v155, v158
	v_fmac_f32_e32 v183, v157, v168
	s_delay_alu instid0(VALU_DEP_3)
	v_fma_f32 v182, v156, v168, -v141
	ds_load_2addr_b64 v[154:157], v251 offset0:126 offset1:189
	s_wait_dscnt 0x0
	v_mul_f32_e32 v141, v155, v161
	v_mul_f32_e32 v185, v154, v161
	;; [unrolled: 1-line block ×3, first 2 shown]
	s_delay_alu instid0(VALU_DEP_3) | instskip(SKIP_1) | instid1(VALU_DEP_4)
	v_fma_f32 v184, v154, v160, -v141
	v_mul_f32_e32 v141, v157, v167
	v_fmac_f32_e32 v185, v155, v160
	s_delay_alu instid0(VALU_DEP_4) | instskip(NEXT) | instid1(VALU_DEP_3)
	v_fmac_f32_e32 v187, v157, v166
	v_fma_f32 v186, v156, v166, -v141
	v_add_nc_u32_e32 v141, 0x1800, v251
	ds_load_2addr_b64 v[154:157], v141 offset0:114 offset1:177
	s_wait_loadcnt_dscnt 0x100
	v_mul_f32_e32 v158, v155, v173
	v_mul_f32_e32 v189, v154, v173
	s_wait_loadcnt 0x0
	v_mul_f32_e32 v173, v156, v179
	s_delay_alu instid0(VALU_DEP_3) | instskip(NEXT) | instid1(VALU_DEP_3)
	v_fma_f32 v188, v154, v172, -v158
	v_dual_mul_f32 v154, v157, v179 :: v_dual_fmac_f32 v189, v155, v172
	s_delay_alu instid0(VALU_DEP_3) | instskip(NEXT) | instid1(VALU_DEP_2)
	v_fmac_f32_e32 v173, v157, v178
	v_fma_f32 v172, v156, v178, -v154
	s_clause 0x3
	global_load_b64 v[160:161], v174, s[0:1] offset:2016
	global_load_b64 v[166:167], v174, s[0:1] offset:2520
	;; [unrolled: 1-line block ×4, first 2 shown]
	ds_load_2addr_b64 v[154:157], v159 offset0:124 offset1:187
	s_wait_loadcnt_dscnt 0x300
	v_mul_f32_e32 v158, v155, v161
	v_mul_f32_e32 v193, v154, v161
	s_wait_loadcnt 0x2
	v_mul_f32_e32 v195, v156, v167
	s_delay_alu instid0(VALU_DEP_3) | instskip(NEXT) | instid1(VALU_DEP_3)
	v_fma_f32 v192, v154, v160, -v158
	v_dual_mul_f32 v154, v157, v167 :: v_dual_fmac_f32 v193, v155, v160
	s_delay_alu instid0(VALU_DEP_3) | instskip(NEXT) | instid1(VALU_DEP_2)
	v_fmac_f32_e32 v195, v157, v166
	v_fma_f32 v194, v156, v166, -v154
	s_clause 0x3
	global_load_b64 v[154:155], v174, s[0:1] offset:8064
	global_load_b64 v[157:158], v174, s[0:1] offset:8568
	;; [unrolled: 1-line block ×4, first 2 shown]
	v_add_nc_u32_e32 v156, 0x1c00, v251
	ds_load_2addr_b64 v[166:169], v156 offset0:112 offset1:175
	s_wait_loadcnt_dscnt 0x300
	v_mul_f32_e32 v198, v167, v155
	v_mul_f32_e32 v199, v166, v155
	s_wait_loadcnt 0x2
	v_mul_f32_e32 v201, v168, v158
	s_delay_alu instid0(VALU_DEP_3) | instskip(NEXT) | instid1(VALU_DEP_3)
	v_fma_f32 v198, v166, v154, -v198
	v_fmac_f32_e32 v199, v167, v154
	v_mul_f32_e32 v154, v169, v158
	s_delay_alu instid0(VALU_DEP_4) | instskip(NEXT) | instid1(VALU_DEP_2)
	v_fmac_f32_e32 v201, v169, v157
	v_fma_f32 v200, v168, v157, -v154
	v_add_nc_u32_e32 v154, 0x800, v251
	ds_load_2addr_b64 v[166:169], v154 offset0:122 offset1:185
	s_wait_dscnt 0x0
	v_mul_f32_e32 v155, v167, v179
	v_mul_f32_e32 v203, v166, v179
	;; [unrolled: 1-line block ×3, first 2 shown]
	s_delay_alu instid0(VALU_DEP_3) | instskip(SKIP_1) | instid1(VALU_DEP_4)
	v_fma_f32 v202, v166, v178, -v155
	v_mul_f32_e32 v155, v169, v191
	v_fmac_f32_e32 v203, v167, v178
	s_delay_alu instid0(VALU_DEP_4) | instskip(NEXT) | instid1(VALU_DEP_3)
	v_fmac_f32_e32 v179, v169, v190
	v_fma_f32 v178, v168, v190, -v155
	v_add_nc_u32_e32 v155, 0x2000, v251
	ds_load_2addr_b64 v[166:169], v155 offset0:110 offset1:173
	s_wait_loadcnt_dscnt 0x100
	v_mul_f32_e32 v157, v167, v161
	s_wait_loadcnt 0x0
	v_mul_f32_e32 v205, v168, v197
	v_mul_f32_e32 v191, v166, v161
	v_add_nc_u32_e32 v161, 0xc00, v251
	v_fma_f32 v190, v166, v160, -v157
	v_mul_f32_e32 v157, v169, v197
	v_fmac_f32_e32 v205, v169, v196
	v_fmac_f32_e32 v191, v167, v160
	s_delay_alu instid0(VALU_DEP_3)
	v_fma_f32 v204, v168, v196, -v157
	s_clause 0x3
	global_load_b64 v[157:158], v174, s[0:1] offset:4032
	global_load_b64 v[196:197], v174, s[0:1] offset:4536
	;; [unrolled: 1-line block ×4, first 2 shown]
	ds_load_2addr_b64 v[166:169], v161 offset0:120 offset1:183
	s_wait_loadcnt_dscnt 0x300
	v_mul_f32_e32 v160, v167, v158
	v_mul_f32_e32 v211, v166, v158
	s_wait_loadcnt 0x2
	v_mul_f32_e32 v213, v168, v197
	s_delay_alu instid0(VALU_DEP_3) | instskip(NEXT) | instid1(VALU_DEP_3)
	v_fma_f32 v210, v166, v157, -v160
	v_fmac_f32_e32 v211, v167, v157
	v_mul_f32_e32 v157, v169, v197
	s_delay_alu instid0(VALU_DEP_4) | instskip(NEXT) | instid1(VALU_DEP_2)
	v_dual_fmac_f32 v213, v169, v196 :: v_dual_add_nc_u32 v160, 0x2400, v251
	v_fma_f32 v212, v168, v196, -v157
	s_clause 0x3
	global_load_b64 v[157:158], v174, s[0:1] offset:10080
	global_load_b64 v[196:197], v174, s[0:1] offset:10584
	global_load_b64 v[214:215], v174, s[0:1] offset:11088
	global_load_b64 v[216:217], v174, s[0:1] offset:11592
	ds_load_2addr_b64 v[166:169], v160 offset0:108 offset1:171
	s_wait_loadcnt_dscnt 0x300
	v_mul_f32_e32 v174, v167, v158
	v_mul_f32_e32 v248, v166, v158
	s_wait_loadcnt 0x2
	v_mul_f32_e32 v250, v168, v197
	s_delay_alu instid0(VALU_DEP_3) | instskip(NEXT) | instid1(VALU_DEP_3)
	v_fma_f32 v247, v166, v157, -v174
	v_fmac_f32_e32 v248, v167, v157
	v_mul_f32_e32 v157, v169, v197
	s_delay_alu instid0(VALU_DEP_4) | instskip(NEXT) | instid1(VALU_DEP_2)
	v_fmac_f32_e32 v250, v169, v196
	v_fma_f32 v249, v168, v196, -v157
	v_add_nc_u32_e32 v157, 0x1000, v251
	ds_load_2addr_b64 v[166:169], v157 offset0:118 offset1:181
	s_wait_dscnt 0x0
	v_mul_f32_e32 v158, v167, v207
	v_mul_f32_e32 v197, v166, v207
	v_mul_f32_e32 v207, v168, v209
	s_delay_alu instid0(VALU_DEP_3) | instskip(NEXT) | instid1(VALU_DEP_3)
	v_fma_f32 v196, v166, v206, -v158
	v_dual_mul_f32 v158, v169, v209 :: v_dual_fmac_f32 v197, v167, v206
	s_delay_alu instid0(VALU_DEP_3) | instskip(NEXT) | instid1(VALU_DEP_2)
	v_fmac_f32_e32 v207, v169, v208
	v_fma_f32 v206, v168, v208, -v158
	v_add_nc_u32_e32 v158, 0x2800, v251
	ds_load_2addr_b64 v[166:169], v158 offset0:106 offset1:169
	s_wait_loadcnt_dscnt 0x100
	v_mul_f32_e32 v174, v167, v215
	v_mul_f32_e32 v209, v166, v215
	s_delay_alu instid0(VALU_DEP_2) | instskip(SKIP_1) | instid1(VALU_DEP_2)
	v_fma_f32 v208, v166, v214, -v174
	s_wait_loadcnt 0x0
	v_dual_fmac_f32 v209, v167, v214 :: v_dual_mul_f32 v166, v169, v217
	v_mul_f32_e32 v167, v168, v217
	s_delay_alu instid0(VALU_DEP_2) | instskip(NEXT) | instid1(VALU_DEP_2)
	v_fma_f32 v166, v168, v216, -v166
	v_fmac_f32_e32 v167, v169, v216
	ds_store_2addr_b64 v251, v[170:171], v[184:185] offset0:63 offset1:126
	ds_store_2addr_b64 v141, v[182:183], v[188:189] offset0:51 offset1:114
	;; [unrolled: 1-line block ×11, first 2 shown]
	ds_store_b64 v251, v[166:167] offset:11592
	global_wb scope:SCOPE_SE
	s_wait_dscnt 0x0
	s_barrier_signal -1
	s_barrier_wait -1
	global_inv scope:SCOPE_SE
	ds_load_2addr_b64 v[166:169], v251 offset1:63
	ds_load_2addr_b64 v[178:181], v140 offset0:116 offset1:179
	ds_load_2addr_b64 v[186:189], v251 offset0:126 offset1:189
	;; [unrolled: 1-line block ×11, first 2 shown]
	global_wb scope:SCOPE_SE
	s_wait_dscnt 0x0
	s_barrier_signal -1
	s_barrier_wait -1
	global_inv scope:SCOPE_SE
	scratch_load_b32 v174, off, off offset:436 th:TH_LOAD_LU ; 4-byte Folded Reload
	v_dual_sub_f32 v184, v166, v178 :: v_dual_sub_f32 v185, v167, v179
	v_dual_sub_f32 v180, v168, v180 :: v_dual_sub_f32 v181, v169, v181
	s_delay_alu instid0(VALU_DEP_2)
	v_fma_f32 v182, v166, 2.0, -v184
	scratch_load_b32 v166, off, off offset:204 th:TH_LOAD_LU ; 4-byte Folded Reload
	v_fma_f32 v183, v167, 2.0, -v185
	v_fma_f32 v178, v168, 2.0, -v180
	;; [unrolled: 1-line block ×3, first 2 shown]
	v_dual_sub_f32 v168, v186, v190 :: v_dual_sub_f32 v169, v187, v191
	s_delay_alu instid0(VALU_DEP_1)
	v_fma_f32 v167, v187, 2.0, -v169
	s_wait_loadcnt 0x0
	ds_store_b128 v166, v[182:185]
	scratch_load_b32 v166, off, off offset:440 th:TH_LOAD_LU ; 4-byte Folded Reload
	s_wait_loadcnt 0x0
	ds_store_b128 v166, v[178:181]
	v_fma_f32 v166, v186, 2.0, -v168
	ds_store_b128 v174, v[166:169]
	scratch_load_b32 v174, off, off offset:432 th:TH_LOAD_LU ; 4-byte Folded Reload
	v_dual_sub_f32 v168, v188, v192 :: v_dual_sub_f32 v169, v189, v193
	s_delay_alu instid0(VALU_DEP_1) | instskip(NEXT) | instid1(VALU_DEP_2)
	v_fma_f32 v166, v188, 2.0, -v168
	v_fma_f32 v167, v189, 2.0, -v169
	s_wait_loadcnt 0x0
	ds_store_b128 v174, v[166:169]
	scratch_load_b32 v174, off, off offset:428 th:TH_LOAD_LU ; 4-byte Folded Reload
	v_dual_sub_f32 v168, v194, v247 :: v_dual_sub_f32 v169, v195, v248
	s_delay_alu instid0(VALU_DEP_1) | instskip(NEXT) | instid1(VALU_DEP_2)
	v_fma_f32 v166, v194, 2.0, -v168
	v_fma_f32 v167, v195, 2.0, -v169
	s_wait_loadcnt 0x0
	;; [unrolled: 7-line block ×5, first 2 shown]
	ds_store_b128 v174, v[166:169]
	v_dual_sub_f32 v168, v206, v210 :: v_dual_sub_f32 v169, v207, v211
	s_delay_alu instid0(VALU_DEP_1) | instskip(NEXT) | instid1(VALU_DEP_2)
	v_fma_f32 v166, v206, 2.0, -v168
	v_fma_f32 v167, v207, 2.0, -v169
	ds_store_b128 v165, v[166:169]
	v_dual_sub_f32 v167, v208, v212 :: v_dual_sub_f32 v168, v209, v213
	s_delay_alu instid0(VALU_DEP_1) | instskip(NEXT) | instid1(VALU_DEP_2)
	v_fma_f32 v165, v208, 2.0, -v167
	v_fma_f32 v166, v209, 2.0, -v168
	ds_store_b128 v164, v[165:168]
	v_dual_sub_f32 v166, v214, v170 :: v_dual_sub_f32 v167, v215, v171
	s_delay_alu instid0(VALU_DEP_1) | instskip(NEXT) | instid1(VALU_DEP_2)
	v_fma_f32 v164, v214, 2.0, -v166
	v_fma_f32 v165, v215, 2.0, -v167
	ds_store_b128 v163, v[164:167]
	v_dual_sub_f32 v165, v216, v172 :: v_dual_sub_f32 v166, v217, v173
	s_delay_alu instid0(VALU_DEP_1) | instskip(NEXT) | instid1(VALU_DEP_2)
	v_fma_f32 v163, v216, 2.0, -v165
	v_fma_f32 v164, v217, 2.0, -v166
	ds_store_b128 v162, v[163:166]
	global_wb scope:SCOPE_SE
	s_wait_dscnt 0x0
	s_barrier_signal -1
	s_barrier_wait -1
	global_inv scope:SCOPE_SE
	ds_load_2addr_b64 v[162:165], v141 offset0:114 offset1:177
	s_wait_dscnt 0x0
	v_mul_f32_e32 v174, v246, v165
	s_delay_alu instid0(VALU_DEP_1) | instskip(NEXT) | instid1(VALU_DEP_1)
	v_dual_mul_f32 v191, v238, v163 :: v_dual_fmac_f32 v174, v245, v164
	v_dual_mul_f32 v164, v246, v164 :: v_dual_fmac_f32 v191, v237, v162
	v_mul_f32_e32 v162, v238, v162
	s_delay_alu instid0(VALU_DEP_2) | instskip(NEXT) | instid1(VALU_DEP_2)
	v_fma_f32 v190, v245, v165, -v164
	v_fma_f32 v192, v237, v163, -v162
	ds_load_2addr_b64 v[162:165], v156 offset0:112 offset1:175
	s_wait_dscnt 0x0
	v_mul_f32_e32 v193, v244, v165
	v_mul_f32_e32 v195, v238, v163
	s_delay_alu instid0(VALU_DEP_2) | instskip(NEXT) | instid1(VALU_DEP_2)
	v_fmac_f32_e32 v193, v243, v164
	v_dual_mul_f32 v164, v244, v164 :: v_dual_fmac_f32 v195, v237, v162
	v_mul_f32_e32 v162, v238, v162
	s_delay_alu instid0(VALU_DEP_2) | instskip(NEXT) | instid1(VALU_DEP_2)
	v_fma_f32 v194, v243, v165, -v164
	v_fma_f32 v196, v237, v163, -v162
	ds_load_2addr_b64 v[162:165], v155 offset0:110 offset1:173
	s_wait_dscnt 0x0
	v_mul_f32_e32 v197, v242, v165
	v_mul_f32_e32 v199, v238, v163
	s_delay_alu instid0(VALU_DEP_2) | instskip(NEXT) | instid1(VALU_DEP_2)
	v_fmac_f32_e32 v197, v241, v164
	;; [unrolled: 11-line block ×3, first 2 shown]
	v_dual_mul_f32 v164, v240, v164 :: v_dual_fmac_f32 v203, v237, v162
	v_mul_f32_e32 v162, v238, v162
	s_delay_alu instid0(VALU_DEP_2) | instskip(NEXT) | instid1(VALU_DEP_2)
	v_fma_f32 v202, v239, v165, -v164
	v_fma_f32 v204, v237, v163, -v162
	ds_load_2addr_b64 v[162:165], v158 offset0:106 offset1:169
	s_wait_dscnt 0x0
	v_dual_mul_f32 v206, v238, v163 :: v_dual_mul_f32 v205, v177, v165
	v_mul_f32_e32 v166, v177, v164
	s_delay_alu instid0(VALU_DEP_2) | instskip(NEXT) | instid1(VALU_DEP_3)
	v_fmac_f32_e32 v206, v237, v162
	v_dual_mul_f32 v162, v238, v162 :: v_dual_fmac_f32 v205, v235, v164
	s_delay_alu instid0(VALU_DEP_3) | instskip(NEXT) | instid1(VALU_DEP_2)
	v_fma_f32 v208, v235, v165, -v166
	v_fma_f32 v207, v237, v163, -v162
	ds_load_2addr_b64 v[162:165], v140 offset0:116 offset1:179
	s_wait_dscnt 0x0
	v_dual_mul_f32 v166, v238, v163 :: v_dual_mul_f32 v209, v236, v165
	s_delay_alu instid0(VALU_DEP_1) | instskip(NEXT) | instid1(VALU_DEP_2)
	v_fmac_f32_e32 v166, v237, v162
	v_dual_mul_f32 v162, v238, v162 :: v_dual_fmac_f32 v209, v176, v164
	s_delay_alu instid0(VALU_DEP_1) | instskip(SKIP_1) | instid1(VALU_DEP_1)
	v_fma_f32 v167, v237, v163, -v162
	v_mul_f32_e32 v162, v236, v164
	v_fma_f32 v210, v176, v165, -v162
	ds_load_2addr_b64 v[162:165], v251 offset1:63
	s_wait_dscnt 0x0
	v_dual_sub_f32 v188, v162, v166 :: v_dual_sub_f32 v189, v163, v167
	ds_load_2addr_b64 v[166:169], v251 offset0:126 offset1:189
	ds_load_2addr_b64 v[170:173], v159 offset0:124 offset1:187
	;; [unrolled: 1-line block ×5, first 2 shown]
	global_wb scope:SCOPE_SE
	s_wait_dscnt 0x0
	s_barrier_signal -1
	s_barrier_wait -1
	global_inv scope:SCOPE_SE
	scratch_load_b32 v211, off, off offset:412 th:TH_LOAD_LU ; 4-byte Folded Reload
	v_fma_f32 v162, v162, 2.0, -v188
	v_fma_f32 v163, v163, 2.0, -v189
	s_wait_loadcnt 0x0
	ds_store_2addr_b64 v211, v[162:163], v[188:189] offset1:2
	scratch_load_b32 v188, off, off offset:408 th:TH_LOAD_LU ; 4-byte Folded Reload
	v_dual_sub_f32 v162, v164, v209 :: v_dual_sub_f32 v163, v165, v210
	s_delay_alu instid0(VALU_DEP_1) | instskip(NEXT) | instid1(VALU_DEP_2)
	v_fma_f32 v164, v164, 2.0, -v162
	v_fma_f32 v165, v165, 2.0, -v163
	s_wait_loadcnt 0x0
	ds_store_2addr_b64 v188, v[164:165], v[162:163] offset1:2
	v_dual_sub_f32 v162, v166, v191 :: v_dual_sub_f32 v163, v167, v192
	s_delay_alu instid0(VALU_DEP_1)
	v_fma_f32 v164, v166, 2.0, -v162
	scratch_load_b32 v166, off, off offset:404 th:TH_LOAD_LU ; 4-byte Folded Reload
	v_fma_f32 v165, v167, 2.0, -v163
	s_wait_loadcnt 0x0
	ds_store_2addr_b64 v166, v[164:165], v[162:163] offset1:2
	scratch_load_b32 v166, off, off offset:400 th:TH_LOAD_LU ; 4-byte Folded Reload
	v_sub_f32_e32 v162, v168, v174
	v_sub_f32_e32 v163, v169, v190
	s_delay_alu instid0(VALU_DEP_2) | instskip(NEXT) | instid1(VALU_DEP_2)
	v_fma_f32 v164, v168, 2.0, -v162
	v_fma_f32 v165, v169, 2.0, -v163
	s_wait_loadcnt 0x0
	ds_store_2addr_b64 v166, v[164:165], v[162:163] offset1:2
	scratch_load_b32 v166, off, off offset:396 th:TH_LOAD_LU ; 4-byte Folded Reload
	v_dual_sub_f32 v162, v170, v195 :: v_dual_sub_f32 v163, v171, v196
	s_delay_alu instid0(VALU_DEP_1) | instskip(NEXT) | instid1(VALU_DEP_2)
	v_fma_f32 v164, v170, 2.0, -v162
	v_fma_f32 v165, v171, 2.0, -v163
	s_wait_loadcnt 0x0
	ds_store_2addr_b64 v166, v[164:165], v[162:163] offset1:2
	scratch_load_b32 v166, off, off offset:392 th:TH_LOAD_LU ; 4-byte Folded Reload
	v_dual_sub_f32 v162, v172, v193 :: v_dual_sub_f32 v163, v173, v194
	s_delay_alu instid0(VALU_DEP_1) | instskip(NEXT) | instid1(VALU_DEP_2)
	;; [unrolled: 7-line block ×8, first 2 shown]
	v_fma_f32 v164, v186, 2.0, -v162
	v_fma_f32 v165, v187, 2.0, -v163
	s_wait_loadcnt 0x0
	ds_store_2addr_b64 v166, v[164:165], v[162:163] offset1:2
	global_wb scope:SCOPE_SE
	s_wait_dscnt 0x0
	s_barrier_signal -1
	s_barrier_wait -1
	global_inv scope:SCOPE_SE
	scratch_load_b32 v166, off, off offset:344 th:TH_LOAD_LU ; 4-byte Folded Reload
	ds_load_2addr_b64 v[162:165], v155 offset0:110 offset1:173
	s_clause 0x1
	scratch_load_b32 v168, off, off offset:348 th:TH_LOAD_LU
	scratch_load_b32 v170, off, off offset:324 th:TH_LOAD_LU
	s_wait_dscnt 0x0
	v_mul_f32_e32 v188, v230, v163
	v_mul_f32_e32 v190, v234, v165
	s_delay_alu instid0(VALU_DEP_2) | instskip(SKIP_1) | instid1(VALU_DEP_3)
	v_fmac_f32_e32 v188, v229, v162
	v_mul_f32_e32 v162, v230, v162
	v_fmac_f32_e32 v190, v233, v164
	s_delay_alu instid0(VALU_DEP_2) | instskip(SKIP_1) | instid1(VALU_DEP_1)
	v_fma_f32 v189, v229, v163, -v162
	v_mul_f32_e32 v162, v234, v164
	v_fma_f32 v191, v233, v165, -v162
	ds_load_2addr_b64 v[162:165], v156 offset0:112 offset1:175
	s_wait_dscnt 0x0
	v_mul_f32_e32 v192, v232, v165
	v_mul_f32_e32 v194, v224, v163
	s_delay_alu instid0(VALU_DEP_2) | instskip(SKIP_1) | instid1(VALU_DEP_3)
	v_fmac_f32_e32 v192, v231, v164
	v_mul_f32_e32 v164, v232, v164
	v_fmac_f32_e32 v194, v223, v162
	v_mul_f32_e32 v162, v224, v162
	s_delay_alu instid0(VALU_DEP_3) | instskip(NEXT) | instid1(VALU_DEP_2)
	v_fma_f32 v193, v231, v165, -v164
	v_fma_f32 v195, v223, v163, -v162
	ds_load_2addr_b64 v[162:165], v160 offset0:108 offset1:171
	s_wait_dscnt 0x0
	v_mul_f32_e32 v197, v224, v163
	s_delay_alu instid0(VALU_DEP_1) | instskip(SKIP_1) | instid1(VALU_DEP_1)
	v_fmac_f32_e32 v197, v223, v162
	v_mul_f32_e32 v162, v224, v162
	v_fma_f32 v198, v223, v163, -v162
	s_wait_loadcnt 0x2
	v_mul_f32_e32 v196, v166, v165
	v_mul_f32_e32 v166, v166, v164
	s_delay_alu instid0(VALU_DEP_2) | instskip(NEXT) | instid1(VALU_DEP_2)
	v_fmac_f32_e32 v196, v221, v164
	v_fma_f32 v199, v221, v165, -v166
	ds_load_2addr_b64 v[162:165], v140 offset0:116 offset1:179
	s_wait_dscnt 0x0
	v_mul_f32_e32 v166, v224, v163
	v_mul_f32_e32 v200, v222, v165
	s_delay_alu instid0(VALU_DEP_2) | instskip(SKIP_1) | instid1(VALU_DEP_1)
	v_fmac_f32_e32 v166, v223, v162
	v_mul_f32_e32 v162, v224, v162
	v_fma_f32 v167, v223, v163, -v162
	scratch_load_b32 v163, off, off offset:316 th:TH_LOAD_LU ; 4-byte Folded Reload
	v_mul_f32_e32 v162, v222, v164
	s_wait_loadcnt 0x0
	v_fmac_f32_e32 v200, v163, v164
	s_delay_alu instid0(VALU_DEP_2) | instskip(SKIP_4) | instid1(VALU_DEP_2)
	v_fma_f32 v201, v163, v165, -v162
	ds_load_2addr_b64 v[162:165], v158 offset0:106 offset1:169
	s_wait_dscnt 0x0
	v_mul_f32_e32 v202, v168, v163
	v_dual_mul_f32 v168, v168, v162 :: v_dual_mul_f32 v203, v175, v165
	v_dual_fmac_f32 v202, v225, v162 :: v_dual_mul_f32 v169, v175, v164
	s_delay_alu instid0(VALU_DEP_2) | instskip(NEXT) | instid1(VALU_DEP_3)
	v_fma_f32 v204, v225, v163, -v168
	v_fmac_f32_e32 v203, v227, v164
	s_delay_alu instid0(VALU_DEP_3) | instskip(SKIP_4) | instid1(VALU_DEP_2)
	v_fma_f32 v205, v227, v165, -v169
	ds_load_2addr_b64 v[162:165], v141 offset0:114 offset1:177
	s_wait_dscnt 0x0
	v_mul_f32_e32 v206, v226, v163
	v_dual_mul_f32 v168, v226, v162 :: v_dual_mul_f32 v207, v228, v165
	v_dual_mul_f32 v169, v228, v164 :: v_dual_fmac_f32 v206, v170, v162
	scratch_load_b32 v162, off, off offset:328 th:TH_LOAD_LU ; 4-byte Folded Reload
	v_fma_f32 v208, v170, v163, -v168
	s_wait_loadcnt 0x0
	v_fmac_f32_e32 v207, v162, v164
	v_fma_f32 v209, v162, v165, -v169
	ds_load_2addr_b64 v[162:165], v251 offset1:63
	s_wait_dscnt 0x0
	v_dual_sub_f32 v186, v162, v166 :: v_dual_sub_f32 v187, v163, v167
	ds_load_2addr_b64 v[166:169], v251 offset0:126 offset1:189
	ds_load_2addr_b64 v[170:173], v159 offset0:124 offset1:187
	ds_load_2addr_b64 v[174:177], v154 offset0:122 offset1:185
	ds_load_2addr_b64 v[178:181], v161 offset0:120 offset1:183
	ds_load_2addr_b64 v[182:185], v157 offset0:118 offset1:181
	global_wb scope:SCOPE_SE
	s_wait_dscnt 0x0
	s_barrier_signal -1
	s_barrier_wait -1
	global_inv scope:SCOPE_SE
	scratch_load_b32 v210, off, off offset:364 th:TH_LOAD_LU ; 4-byte Folded Reload
	v_fma_f32 v162, v162, 2.0, -v186
	v_fma_f32 v163, v163, 2.0, -v187
	s_wait_loadcnt 0x0
	ds_store_2addr_b64 v210, v[162:163], v[186:187] offset1:4
	scratch_load_b32 v186, off, off offset:360 th:TH_LOAD_LU ; 4-byte Folded Reload
	v_dual_sub_f32 v162, v164, v200 :: v_dual_sub_f32 v163, v165, v201
	s_delay_alu instid0(VALU_DEP_1) | instskip(NEXT) | instid1(VALU_DEP_2)
	v_fma_f32 v164, v164, 2.0, -v162
	v_fma_f32 v165, v165, 2.0, -v163
	s_wait_loadcnt 0x0
	ds_store_2addr_b64 v186, v[164:165], v[162:163] offset1:4
	v_dual_sub_f32 v162, v166, v206 :: v_dual_sub_f32 v163, v167, v208
	s_delay_alu instid0(VALU_DEP_1)
	v_fma_f32 v164, v166, 2.0, -v162
	scratch_load_b32 v166, off, off offset:356 th:TH_LOAD_LU ; 4-byte Folded Reload
	v_fma_f32 v165, v167, 2.0, -v163
	s_wait_loadcnt 0x0
	ds_store_2addr_b64 v166, v[164:165], v[162:163] offset1:4
	scratch_load_b32 v166, off, off offset:352 th:TH_LOAD_LU ; 4-byte Folded Reload
	v_dual_sub_f32 v162, v168, v207 :: v_dual_sub_f32 v163, v169, v209
	s_delay_alu instid0(VALU_DEP_1) | instskip(NEXT) | instid1(VALU_DEP_2)
	v_fma_f32 v164, v168, 2.0, -v162
	v_fma_f32 v165, v169, 2.0, -v163
	s_wait_loadcnt 0x0
	ds_store_2addr_b64 v166, v[164:165], v[162:163] offset1:4
	scratch_load_b32 v166, off, off offset:340 th:TH_LOAD_LU ; 4-byte Folded Reload
	v_dual_sub_f32 v162, v170, v194 :: v_dual_sub_f32 v163, v171, v195
	s_delay_alu instid0(VALU_DEP_1) | instskip(NEXT) | instid1(VALU_DEP_2)
	v_fma_f32 v164, v170, 2.0, -v162
	;; [unrolled: 7-line block ×9, first 2 shown]
	v_fma_f32 v165, v185, 2.0, -v163
	s_wait_loadcnt 0x0
	ds_store_2addr_b64 v166, v[164:165], v[162:163] offset1:4
	global_wb scope:SCOPE_SE
	s_wait_dscnt 0x0
	s_barrier_signal -1
	s_barrier_wait -1
	global_inv scope:SCOPE_SE
	ds_load_2addr_b64 v[162:165], v161 offset0:120 offset1:183
	ds_load_2addr_b64 v[166:169], v156 offset0:112 offset1:175
	s_wait_dscnt 0x1
	v_mul_f32_e32 v170, v125, v163
	v_mul_f32_e32 v125, v125, v162
	s_delay_alu instid0(VALU_DEP_2) | instskip(NEXT) | instid1(VALU_DEP_2)
	v_fmac_f32_e32 v170, v124, v162
	v_fma_f32 v162, v124, v163, -v125
	s_wait_dscnt 0x0
	v_mul_f32_e32 v163, v127, v167
	v_mul_f32_e32 v124, v127, v166
	s_delay_alu instid0(VALU_DEP_2) | instskip(NEXT) | instid1(VALU_DEP_2)
	v_fmac_f32_e32 v163, v126, v166
	v_fma_f32 v166, v126, v167, -v124
	v_mul_f32_e32 v167, v117, v165
	v_mul_f32_e32 v117, v117, v164
	ds_load_2addr_b64 v[124:127], v155 offset0:110 offset1:173
	v_fmac_f32_e32 v167, v116, v164
	v_fma_f32 v164, v116, v165, -v117
	v_mul_f32_e32 v165, v119, v169
	v_mul_f32_e32 v116, v119, v168
	s_delay_alu instid0(VALU_DEP_2) | instskip(NEXT) | instid1(VALU_DEP_2)
	v_fmac_f32_e32 v165, v118, v168
	v_fma_f32 v168, v118, v169, -v116
	ds_load_2addr_b64 v[116:119], v157 offset0:118 offset1:181
	s_wait_dscnt 0x0
	v_mul_f32_e32 v169, v121, v117
	s_delay_alu instid0(VALU_DEP_1) | instskip(SKIP_1) | instid1(VALU_DEP_1)
	v_fmac_f32_e32 v169, v120, v116
	v_dual_mul_f32 v116, v121, v116 :: v_dual_mul_f32 v121, v123, v125
	v_fma_f32 v120, v120, v117, -v116
	v_dual_mul_f32 v116, v123, v124 :: v_dual_mul_f32 v123, v109, v119
	v_mul_f32_e32 v109, v109, v118
	s_delay_alu instid0(VALU_DEP_4) | instskip(NEXT) | instid1(VALU_DEP_3)
	v_fmac_f32_e32 v121, v122, v124
	v_fma_f32 v122, v122, v125, -v116
	s_delay_alu instid0(VALU_DEP_4) | instskip(NEXT) | instid1(VALU_DEP_4)
	v_fmac_f32_e32 v123, v108, v118
	v_fma_f32 v124, v108, v119, -v109
	v_mul_f32_e32 v125, v111, v127
	v_mul_f32_e32 v108, v111, v126
	ds_load_2addr_b64 v[116:119], v160 offset0:108 offset1:171
	v_fmac_f32_e32 v125, v110, v126
	v_fma_f32 v126, v110, v127, -v108
	ds_load_2addr_b64 v[108:111], v140 offset0:116 offset1:179
	s_wait_dscnt 0x1
	v_mul_f32_e32 v172, v115, v117
	s_wait_dscnt 0x0
	v_dual_mul_f32 v174, v103, v119 :: v_dual_mul_f32 v127, v113, v109
	s_delay_alu instid0(VALU_DEP_2) | instskip(NEXT) | instid1(VALU_DEP_2)
	v_fmac_f32_e32 v172, v114, v116
	v_dual_fmac_f32 v174, v102, v118 :: v_dual_fmac_f32 v127, v112, v108
	v_mul_f32_e32 v108, v113, v108
	s_delay_alu instid0(VALU_DEP_1) | instskip(SKIP_1) | instid1(VALU_DEP_1)
	v_fma_f32 v171, v112, v109, -v108
	v_mul_f32_e32 v108, v115, v116
	v_fma_f32 v116, v114, v117, -v108
	v_mul_f32_e32 v117, v101, v111
	v_mul_f32_e32 v101, v101, v110
	s_delay_alu instid0(VALU_DEP_2) | instskip(NEXT) | instid1(VALU_DEP_2)
	v_fmac_f32_e32 v117, v100, v110
	v_fma_f32 v173, v100, v111, -v101
	v_mul_f32_e32 v100, v103, v118
	ds_load_2addr_b64 v[108:111], v158 offset0:106 offset1:169
	v_fma_f32 v118, v102, v119, -v100
	ds_load_2addr_b64 v[100:103], v141 offset0:114 offset1:177
	s_wait_dscnt 0x1
	v_mul_f32_e32 v180, v99, v111
	v_mul_f32_e32 v176, v107, v109
	s_wait_dscnt 0x0
	v_mul_f32_e32 v178, v97, v103
	v_mul_f32_e32 v97, v97, v102
	v_dual_fmac_f32 v180, v98, v110 :: v_dual_mul_f32 v119, v105, v101
	v_fmac_f32_e32 v176, v106, v108
	s_delay_alu instid0(VALU_DEP_4) | instskip(NEXT) | instid1(VALU_DEP_4)
	v_fmac_f32_e32 v178, v96, v102
	v_fma_f32 v179, v96, v103, -v97
	s_delay_alu instid0(VALU_DEP_4) | instskip(SKIP_1) | instid1(VALU_DEP_2)
	v_dual_mul_f32 v96, v99, v110 :: v_dual_fmac_f32 v119, v104, v100
	v_mul_f32_e32 v100, v105, v100
	v_fma_f32 v181, v98, v111, -v96
	ds_load_2addr_b64 v[96:99], v251 offset1:63
	v_fma_f32 v175, v104, v101, -v100
	v_mul_f32_e32 v100, v107, v108
	s_delay_alu instid0(VALU_DEP_1) | instskip(SKIP_2) | instid1(VALU_DEP_1)
	v_fma_f32 v177, v106, v109, -v100
	s_wait_dscnt 0x0
	v_add_f32_e32 v100, v97, v162
	v_add_f32_e32 v113, v100, v166
	;; [unrolled: 1-line block ×3, first 2 shown]
	s_delay_alu instid0(VALU_DEP_1) | instskip(SKIP_3) | instid1(VALU_DEP_4)
	v_dual_add_f32 v112, v100, v163 :: v_dual_add_f32 v101, v162, v166
	v_add_f32_e32 v100, v170, v163
	v_sub_f32_e32 v162, v162, v166
	v_sub_f32_e32 v163, v170, v163
	v_fma_f32 v97, -0.5, v101, v97
	s_delay_alu instid0(VALU_DEP_4)
	v_fma_f32 v96, -0.5, v100, v96
	ds_load_2addr_b64 v[100:103], v251 offset0:126 offset1:189
	ds_load_2addr_b64 v[104:107], v159 offset0:124 offset1:187
	;; [unrolled: 1-line block ×3, first 2 shown]
	global_wb scope:SCOPE_SE
	s_wait_dscnt 0x0
	s_barrier_signal -1
	s_barrier_wait -1
	global_inv scope:SCOPE_SE
	scratch_load_b32 v166, off, off offset:284 th:TH_LOAD_LU ; 4-byte Folded Reload
	v_fmamk_f32 v114, v162, 0xbf5db3d7, v96
	v_fmac_f32_e32 v96, 0x3f5db3d7, v162
	scratch_load_b32 v162, off, off offset:296 th:TH_LOAD_LU ; 4-byte Folded Reload
	v_fmamk_f32 v115, v163, 0x3f5db3d7, v97
	v_fmac_f32_e32 v97, 0xbf5db3d7, v163
	s_wait_loadcnt 0x1
	ds_store_b64 v166, v[96:97] offset:128
	v_add_f32_e32 v96, v167, v165
	ds_store_2addr_b64 v166, v[112:113], v[114:115] offset1:8
	v_add_f32_e32 v112, v98, v167
	v_dual_sub_f32 v114, v164, v168 :: v_dual_sub_f32 v115, v167, v165
	v_fma_f32 v98, -0.5, v96, v98
	v_add_f32_e32 v96, v99, v164
	v_add_f32_e32 v113, v164, v168
	s_delay_alu instid0(VALU_DEP_2) | instskip(NEXT) | instid1(VALU_DEP_2)
	v_add_f32_e32 v97, v96, v168
	v_fmac_f32_e32 v99, -0.5, v113
	v_add_f32_e32 v96, v112, v165
	v_fmamk_f32 v112, v114, 0xbf5db3d7, v98
	v_fmac_f32_e32 v98, 0x3f5db3d7, v114
	scratch_load_b32 v114, off, off offset:292 th:TH_LOAD_LU ; 4-byte Folded Reload
	v_fmamk_f32 v113, v115, 0x3f5db3d7, v99
	v_fmac_f32_e32 v99, 0xbf5db3d7, v115
	s_wait_loadcnt 0x1
	ds_store_2addr_b64 v162, v[96:97], v[112:113] offset1:8
	ds_store_b64 v162, v[98:99] offset:128
	v_add_f32_e32 v98, v169, v121
	v_add_f32_e32 v96, v101, v120
	v_sub_f32_e32 v112, v120, v122
	v_add_f32_e32 v99, v120, v122
	v_sub_f32_e32 v113, v169, v121
	v_fma_f32 v98, -0.5, v98, v100
	v_add_f32_e32 v97, v96, v122
	v_add_f32_e32 v96, v100, v169
	v_fma_f32 v99, -0.5, v99, v101
	s_delay_alu instid0(VALU_DEP_4)
	v_fmamk_f32 v100, v112, 0xbf5db3d7, v98
	v_fmac_f32_e32 v98, 0x3f5db3d7, v112
	scratch_load_b32 v112, off, off offset:288 th:TH_LOAD_LU ; 4-byte Folded Reload
	v_dual_add_f32 v96, v96, v121 :: v_dual_fmamk_f32 v101, v113, 0x3f5db3d7, v99
	v_fmac_f32_e32 v99, 0xbf5db3d7, v113
	s_wait_loadcnt 0x1
	ds_store_2addr_b64 v114, v[96:97], v[100:101] offset1:8
	ds_store_b64 v114, v[98:99] offset:128
	v_dual_add_f32 v96, v123, v125 :: v_dual_add_f32 v99, v124, v126
	v_add_f32_e32 v98, v102, v123
	v_dual_sub_f32 v100, v124, v126 :: v_dual_sub_f32 v101, v123, v125
	s_delay_alu instid0(VALU_DEP_3) | instskip(NEXT) | instid1(VALU_DEP_4)
	v_fma_f32 v102, -0.5, v96, v102
	v_dual_add_f32 v96, v103, v124 :: v_dual_fmac_f32 v103, -0.5, v99
	s_delay_alu instid0(VALU_DEP_1) | instskip(NEXT) | instid1(VALU_DEP_3)
	v_dual_add_f32 v97, v96, v126 :: v_dual_add_f32 v96, v98, v125
	v_fmamk_f32 v98, v100, 0xbf5db3d7, v102
	s_delay_alu instid0(VALU_DEP_3)
	v_dual_fmamk_f32 v99, v101, 0x3f5db3d7, v103 :: v_dual_fmac_f32 v102, 0x3f5db3d7, v100
	v_fmac_f32_e32 v103, 0xbf5db3d7, v101
	s_wait_loadcnt 0x0
	ds_store_2addr_b64 v112, v[96:97], v[98:99] offset1:8
	v_add_f32_e32 v96, v105, v171
	v_add_f32_e32 v98, v127, v172
	ds_store_b64 v112, v[102:103] offset:128
	v_sub_f32_e32 v102, v171, v116
	v_add_f32_e32 v99, v171, v116
	v_add_f32_e32 v97, v96, v116
	;; [unrolled: 1-line block ×3, first 2 shown]
	v_fma_f32 v98, -0.5, v98, v104
	scratch_load_b32 v104, off, off offset:280 th:TH_LOAD_LU ; 4-byte Folded Reload
	v_fma_f32 v99, -0.5, v99, v105
	v_sub_f32_e32 v103, v127, v172
	v_add_f32_e32 v96, v96, v172
	v_fmamk_f32 v100, v102, 0xbf5db3d7, v98
	v_fmac_f32_e32 v98, 0x3f5db3d7, v102
	scratch_load_b32 v102, off, off offset:276 th:TH_LOAD_LU ; 4-byte Folded Reload
	v_fmamk_f32 v101, v103, 0x3f5db3d7, v99
	v_fmac_f32_e32 v99, 0xbf5db3d7, v103
	v_sub_f32_e32 v103, v119, v176
	s_wait_loadcnt 0x1
	ds_store_2addr_b64 v104, v[96:97], v[100:101] offset1:8
	ds_store_b64 v104, v[98:99] offset:128
	v_add_f32_e32 v96, v117, v174
	v_dual_add_f32 v99, v173, v118 :: v_dual_add_f32 v98, v106, v117
	v_sub_f32_e32 v100, v173, v118
	v_sub_f32_e32 v101, v117, v174
	s_delay_alu instid0(VALU_DEP_4) | instskip(NEXT) | instid1(VALU_DEP_4)
	v_fma_f32 v106, -0.5, v96, v106
	v_dual_add_f32 v96, v107, v173 :: v_dual_fmac_f32 v107, -0.5, v99
	scratch_load_b32 v104, off, off offset:272 th:TH_LOAD_LU ; 4-byte Folded Reload
	v_add_f32_e32 v97, v96, v118
	v_add_f32_e32 v96, v98, v174
	v_fmamk_f32 v98, v100, 0xbf5db3d7, v106
	v_dual_fmamk_f32 v99, v101, 0x3f5db3d7, v107 :: v_dual_fmac_f32 v106, 0x3f5db3d7, v100
	s_wait_loadcnt 0x1
	ds_store_2addr_b64 v102, v[96:97], v[98:99] offset1:8
	v_add_f32_e32 v96, v109, v175
	v_add_f32_e32 v98, v119, v176
	;; [unrolled: 1-line block ×3, first 2 shown]
	s_delay_alu instid0(VALU_DEP_3) | instskip(SKIP_1) | instid1(VALU_DEP_4)
	v_add_f32_e32 v97, v96, v177
	v_add_f32_e32 v96, v108, v119
	v_fma_f32 v98, -0.5, v98, v108
	s_delay_alu instid0(VALU_DEP_4) | instskip(NEXT) | instid1(VALU_DEP_3)
	v_fma_f32 v99, -0.5, v99, v109
	v_dual_add_f32 v96, v96, v176 :: v_dual_fmac_f32 v107, 0xbf5db3d7, v101
	s_delay_alu instid0(VALU_DEP_2) | instskip(SKIP_3) | instid1(VALU_DEP_1)
	v_fmamk_f32 v101, v103, 0x3f5db3d7, v99
	v_fmac_f32_e32 v99, 0xbf5db3d7, v103
	ds_store_b64 v102, v[106:107] offset:128
	v_sub_f32_e32 v102, v175, v177
	v_fmamk_f32 v100, v102, 0xbf5db3d7, v98
	v_fmac_f32_e32 v98, 0x3f5db3d7, v102
	scratch_load_b32 v102, off, off offset:268 th:TH_LOAD_LU ; 4-byte Folded Reload
	s_wait_loadcnt 0x1
	ds_store_2addr_b64 v104, v[96:97], v[100:101] offset1:8
	v_add_f32_e32 v96, v178, v180
	ds_store_b64 v104, v[98:99] offset:128
	v_dual_add_f32 v98, v110, v178 :: v_dual_add_f32 v97, v111, v179
	v_sub_f32_e32 v100, v179, v181
	v_fma_f32 v110, -0.5, v96, v110
	v_dual_add_f32 v96, v179, v181 :: v_dual_sub_f32 v101, v178, v180
	s_delay_alu instid0(VALU_DEP_4) | instskip(NEXT) | instid1(VALU_DEP_2)
	v_add_f32_e32 v97, v97, v181
	v_fmac_f32_e32 v111, -0.5, v96
	v_add_f32_e32 v96, v98, v180
	v_fmamk_f32 v98, v100, 0xbf5db3d7, v110
	s_delay_alu instid0(VALU_DEP_3)
	v_dual_fmac_f32 v110, 0x3f5db3d7, v100 :: v_dual_fmamk_f32 v99, v101, 0x3f5db3d7, v111
	v_fmac_f32_e32 v111, 0xbf5db3d7, v101
	s_wait_loadcnt 0x0
	ds_store_2addr_b64 v102, v[96:97], v[98:99] offset1:8
	ds_store_b64 v102, v[110:111] offset:128
	global_wb scope:SCOPE_SE
	s_wait_dscnt 0x0
	s_barrier_signal -1
	s_barrier_wait -1
	global_inv scope:SCOPE_SE
	ds_load_2addr_b64 v[96:99], v161 offset0:120 offset1:183
	ds_load_2addr_b64 v[100:103], v156 offset0:112 offset1:175
	s_wait_dscnt 0x1
	v_mul_f32_e32 v104, v69, v97
	v_mul_f32_e32 v69, v69, v96
	s_delay_alu instid0(VALU_DEP_2) | instskip(NEXT) | instid1(VALU_DEP_2)
	v_fmac_f32_e32 v104, v68, v96
	v_fma_f32 v96, v68, v97, -v69
	s_wait_dscnt 0x0
	v_mul_f32_e32 v97, v71, v101
	v_mul_f32_e32 v68, v71, v100
	s_delay_alu instid0(VALU_DEP_2) | instskip(NEXT) | instid1(VALU_DEP_2)
	v_fmac_f32_e32 v97, v70, v100
	v_fma_f32 v100, v70, v101, -v68
	ds_load_2addr_b64 v[68:71], v155 offset0:110 offset1:173
	v_mul_f32_e32 v101, v49, v99
	v_mul_f32_e32 v49, v49, v98
	s_delay_alu instid0(VALU_DEP_2) | instskip(NEXT) | instid1(VALU_DEP_2)
	v_fmac_f32_e32 v101, v48, v98
	v_fma_f32 v98, v48, v99, -v49
	v_mul_f32_e32 v48, v51, v102
	s_wait_dscnt 0x0
	v_mul_f32_e32 v108, v39, v71
	v_mul_f32_e32 v99, v51, v103
	;; [unrolled: 1-line block ×3, first 2 shown]
	s_delay_alu instid0(VALU_DEP_3) | instskip(NEXT) | instid1(VALU_DEP_3)
	v_fmac_f32_e32 v108, v38, v70
	v_fmac_f32_e32 v99, v50, v102
	v_fma_f32 v102, v50, v103, -v48
	ds_load_2addr_b64 v[48:51], v157 offset0:118 offset1:181
	s_wait_dscnt 0x0
	v_dual_fmac_f32 v106, v54, v68 :: v_dual_mul_f32 v103, v53, v49
	s_delay_alu instid0(VALU_DEP_1) | instskip(SKIP_1) | instid1(VALU_DEP_1)
	v_fmac_f32_e32 v103, v52, v48
	v_mul_f32_e32 v48, v53, v48
	v_fma_f32 v105, v52, v49, -v48
	v_mul_f32_e32 v48, v55, v68
	s_delay_alu instid0(VALU_DEP_1) | instskip(SKIP_2) | instid1(VALU_DEP_2)
	v_fma_f32 v68, v54, v69, -v48
	v_mul_f32_e32 v69, v37, v51
	v_mul_f32_e32 v37, v37, v50
	v_fmac_f32_e32 v69, v36, v50
	s_delay_alu instid0(VALU_DEP_2)
	v_fma_f32 v107, v36, v51, -v37
	v_mul_f32_e32 v36, v39, v70
	ds_load_2addr_b64 v[48:51], v160 offset0:108 offset1:171
	v_fma_f32 v70, v38, v71, -v36
	ds_load_2addr_b64 v[36:39], v140 offset0:116 offset1:179
	s_wait_dscnt 0x0
	v_dual_mul_f32 v110, v43, v51 :: v_dual_mul_f32 v71, v57, v37
	s_delay_alu instid0(VALU_DEP_1) | instskip(SKIP_1) | instid1(VALU_DEP_1)
	v_dual_fmac_f32 v110, v42, v50 :: v_dual_fmac_f32 v71, v56, v36
	v_dual_mul_f32 v36, v57, v36 :: v_dual_mul_f32 v57, v59, v49
	v_fma_f32 v56, v56, v37, -v36
	v_mul_f32_e32 v36, v59, v48
	s_delay_alu instid0(VALU_DEP_3) | instskip(SKIP_1) | instid1(VALU_DEP_3)
	v_fmac_f32_e32 v57, v58, v48
	v_mul_f32_e32 v59, v41, v39
	v_fma_f32 v58, v58, v49, -v36
	v_mul_f32_e32 v36, v41, v38
	s_delay_alu instid0(VALU_DEP_3) | instskip(NEXT) | instid1(VALU_DEP_2)
	v_fmac_f32_e32 v59, v40, v38
	v_fma_f32 v109, v40, v39, -v36
	v_mul_f32_e32 v36, v43, v50
	s_delay_alu instid0(VALU_DEP_1)
	v_fma_f32 v111, v42, v51, -v36
	ds_load_2addr_b64 v[36:39], v141 offset0:114 offset1:177
	ds_load_2addr_b64 v[40:43], v158 offset0:106 offset1:169
	s_wait_dscnt 0x1
	v_mul_f32_e32 v112, v61, v37
	s_wait_dscnt 0x0
	v_mul_f32_e32 v114, v47, v43
	s_delay_alu instid0(VALU_DEP_2) | instskip(SKIP_1) | instid1(VALU_DEP_3)
	v_fmac_f32_e32 v112, v60, v36
	v_dual_mul_f32 v36, v61, v36 :: v_dual_mul_f32 v61, v63, v41
	v_fmac_f32_e32 v114, v46, v42
	s_delay_alu instid0(VALU_DEP_2) | instskip(SKIP_1) | instid1(VALU_DEP_4)
	v_fma_f32 v60, v60, v37, -v36
	v_mul_f32_e32 v36, v63, v40
	v_fmac_f32_e32 v61, v62, v40
	v_mul_f32_e32 v63, v45, v39
	s_delay_alu instid0(VALU_DEP_3) | instskip(SKIP_1) | instid1(VALU_DEP_3)
	v_fma_f32 v62, v62, v41, -v36
	v_mul_f32_e32 v36, v45, v38
	v_fmac_f32_e32 v63, v44, v38
	v_add_f32_e32 v41, v96, v100
	s_delay_alu instid0(VALU_DEP_3) | instskip(SKIP_1) | instid1(VALU_DEP_1)
	v_fma_f32 v113, v44, v39, -v36
	v_mul_f32_e32 v36, v47, v42
	v_fma_f32 v115, v46, v43, -v36
	ds_load_2addr_b64 v[36:39], v251 offset1:63
	s_wait_dscnt 0x0
	v_add_f32_e32 v40, v37, v96
	v_fma_f32 v37, -0.5, v41, v37
	v_sub_f32_e32 v96, v96, v100
	s_delay_alu instid0(VALU_DEP_3) | instskip(SKIP_1) | instid1(VALU_DEP_1)
	v_add_f32_e32 v53, v40, v100
	v_add_f32_e32 v40, v36, v104
	;; [unrolled: 1-line block ×4, first 2 shown]
	v_sub_f32_e32 v97, v104, v97
	s_delay_alu instid0(VALU_DEP_2)
	v_fma_f32 v36, -0.5, v40, v36
	ds_load_2addr_b64 v[40:43], v251 offset0:126 offset1:189
	ds_load_2addr_b64 v[44:47], v159 offset0:124 offset1:187
	;; [unrolled: 1-line block ×3, first 2 shown]
	global_wb scope:SCOPE_SE
	s_wait_dscnt 0x0
	s_barrier_signal -1
	s_barrier_wait -1
	global_inv scope:SCOPE_SE
	scratch_load_b32 v100, off, off offset:228 th:TH_LOAD_LU ; 4-byte Folded Reload
	v_fmamk_f32 v54, v96, 0xbf5db3d7, v36
	v_fmac_f32_e32 v36, 0x3f5db3d7, v96
	scratch_load_b32 v96, off, off offset:240 th:TH_LOAD_LU ; 4-byte Folded Reload
	v_fmamk_f32 v55, v97, 0x3f5db3d7, v37
	v_fmac_f32_e32 v37, 0xbf5db3d7, v97
	s_wait_loadcnt 0x1
	ds_store_2addr_b64 v100, v[52:53], v[54:55] offset1:24
	ds_store_b64 v100, v[36:37] offset:384
	v_dual_add_f32 v36, v101, v99 :: v_dual_add_f32 v53, v98, v102
	v_add_f32_e32 v52, v38, v101
	v_dual_sub_f32 v54, v98, v102 :: v_dual_sub_f32 v55, v101, v99
	s_delay_alu instid0(VALU_DEP_3) | instskip(NEXT) | instid1(VALU_DEP_4)
	v_fma_f32 v38, -0.5, v36, v38
	v_dual_add_f32 v36, v39, v98 :: v_dual_fmac_f32 v39, -0.5, v53
	s_delay_alu instid0(VALU_DEP_1) | instskip(NEXT) | instid1(VALU_DEP_2)
	v_add_f32_e32 v37, v36, v102
	v_dual_add_f32 v36, v52, v99 :: v_dual_fmamk_f32 v53, v55, 0x3f5db3d7, v39
	s_delay_alu instid0(VALU_DEP_4)
	v_fmamk_f32 v52, v54, 0xbf5db3d7, v38
	v_fmac_f32_e32 v38, 0x3f5db3d7, v54
	v_fmac_f32_e32 v39, 0xbf5db3d7, v55
	scratch_load_b32 v54, off, off offset:232 th:TH_LOAD_LU ; 4-byte Folded Reload
	s_wait_loadcnt 0x1
	ds_store_2addr_b64 v96, v[36:37], v[52:53] offset1:24
	v_add_f32_e32 v36, v41, v105
	ds_store_b64 v96, v[38:39] offset:384
	v_dual_add_f32 v38, v103, v106 :: v_dual_add_f32 v39, v105, v68
	v_dual_sub_f32 v52, v105, v68 :: v_dual_sub_f32 v53, v103, v106
	v_add_f32_e32 v37, v36, v68
	s_delay_alu instid0(VALU_DEP_3) | instskip(NEXT) | instid1(VALU_DEP_4)
	v_fma_f32 v38, -0.5, v38, v40
	v_fma_f32 v39, -0.5, v39, v41
	v_add_f32_e32 v36, v40, v103
	s_delay_alu instid0(VALU_DEP_3)
	v_fmamk_f32 v40, v52, 0xbf5db3d7, v38
	v_fmac_f32_e32 v38, 0x3f5db3d7, v52
	scratch_load_b32 v52, off, off offset:224 th:TH_LOAD_LU ; 4-byte Folded Reload
	v_dual_fmamk_f32 v41, v53, 0x3f5db3d7, v39 :: v_dual_add_f32 v36, v36, v106
	v_fmac_f32_e32 v39, 0xbf5db3d7, v53
	s_wait_loadcnt 0x1
	ds_store_b64 v54, v[38:39] offset:384
	v_add_f32_e32 v39, v107, v70
	ds_store_2addr_b64 v54, v[36:37], v[40:41] offset1:24
	v_add_f32_e32 v36, v69, v108
	v_dual_add_f32 v38, v42, v69 :: v_dual_sub_f32 v41, v69, v108
	s_delay_alu instid0(VALU_DEP_2) | instskip(SKIP_2) | instid1(VALU_DEP_1)
	v_fma_f32 v42, -0.5, v36, v42
	v_add_f32_e32 v36, v43, v107
	v_dual_fmac_f32 v43, -0.5, v39 :: v_dual_sub_f32 v40, v107, v70
	v_fmamk_f32 v39, v41, 0x3f5db3d7, v43
	v_fmac_f32_e32 v43, 0xbf5db3d7, v41
	s_delay_alu instid0(VALU_DEP_4) | instskip(NEXT) | instid1(VALU_DEP_4)
	v_dual_add_f32 v37, v36, v70 :: v_dual_add_f32 v36, v38, v108
	v_fmamk_f32 v38, v40, 0xbf5db3d7, v42
	v_fmac_f32_e32 v42, 0x3f5db3d7, v40
	s_wait_loadcnt 0x0
	ds_store_b64 v52, v[42:43] offset:384
	v_sub_f32_e32 v43, v71, v57
	ds_store_2addr_b64 v52, v[36:37], v[38:39] offset1:24
	v_dual_add_f32 v39, v56, v58 :: v_dual_add_f32 v38, v71, v57
	s_delay_alu instid0(VALU_DEP_1) | instskip(SKIP_1) | instid1(VALU_DEP_3)
	v_fma_f32 v39, -0.5, v39, v45
	v_add_f32_e32 v36, v45, v56
	v_fma_f32 v38, -0.5, v38, v44
	s_delay_alu instid0(VALU_DEP_3) | instskip(SKIP_1) | instid1(VALU_DEP_4)
	v_dual_sub_f32 v42, v56, v58 :: v_dual_fmamk_f32 v41, v43, 0x3f5db3d7, v39
	v_fmac_f32_e32 v39, 0xbf5db3d7, v43
	v_add_f32_e32 v37, v36, v58
	v_add_f32_e32 v36, v44, v71
	scratch_load_b32 v44, off, off offset:220 th:TH_LOAD_LU ; 4-byte Folded Reload
	v_fmamk_f32 v40, v42, 0xbf5db3d7, v38
	v_fmac_f32_e32 v38, 0x3f5db3d7, v42
	scratch_load_b32 v42, off, off offset:216 th:TH_LOAD_LU ; 4-byte Folded Reload
	v_add_f32_e32 v36, v36, v57
	v_sub_f32_e32 v43, v112, v61
	s_wait_loadcnt 0x1
	ds_store_b64 v44, v[38:39] offset:384
	v_add_f32_e32 v39, v109, v111
	ds_store_2addr_b64 v44, v[36:37], v[40:41] offset1:24
	v_sub_f32_e32 v41, v59, v110
	v_add_f32_e32 v36, v59, v110
	v_add_f32_e32 v38, v46, v59
	v_sub_f32_e32 v40, v109, v111
	scratch_load_b32 v44, off, off offset:212 th:TH_LOAD_LU ; 4-byte Folded Reload
	v_fma_f32 v46, -0.5, v36, v46
	v_dual_add_f32 v36, v47, v109 :: v_dual_fmac_f32 v47, -0.5, v39
	s_delay_alu instid0(VALU_DEP_1) | instskip(NEXT) | instid1(VALU_DEP_3)
	v_dual_add_f32 v37, v36, v111 :: v_dual_add_f32 v36, v38, v110
	v_fmamk_f32 v38, v40, 0xbf5db3d7, v46
	s_delay_alu instid0(VALU_DEP_3)
	v_fmamk_f32 v39, v41, 0x3f5db3d7, v47
	v_fmac_f32_e32 v47, 0xbf5db3d7, v41
	s_wait_loadcnt 0x1
	ds_store_2addr_b64 v42, v[36:37], v[38:39] offset1:24
	v_add_f32_e32 v36, v49, v60
	v_add_f32_e32 v38, v112, v61
	v_add_f32_e32 v39, v60, v62
	s_delay_alu instid0(VALU_DEP_3) | instskip(NEXT) | instid1(VALU_DEP_3)
	v_dual_add_f32 v37, v36, v62 :: v_dual_fmac_f32 v46, 0x3f5db3d7, v40
	v_fma_f32 v38, -0.5, v38, v48
	v_add_f32_e32 v36, v48, v112
	s_delay_alu instid0(VALU_DEP_4) | instskip(SKIP_3) | instid1(VALU_DEP_2)
	v_fma_f32 v39, -0.5, v39, v49
	ds_store_b64 v42, v[46:47] offset:384
	v_sub_f32_e32 v42, v60, v62
	v_add_f32_e32 v36, v36, v61
	v_fmamk_f32 v40, v42, 0xbf5db3d7, v38
	v_fmac_f32_e32 v38, 0x3f5db3d7, v42
	scratch_load_b32 v42, off, off offset:208 th:TH_LOAD_LU ; 4-byte Folded Reload
	v_fmamk_f32 v41, v43, 0x3f5db3d7, v39
	v_fmac_f32_e32 v39, 0xbf5db3d7, v43
	s_wait_loadcnt 0x1
	ds_store_2addr_b64 v44, v[36:37], v[40:41] offset1:24
	v_sub_f32_e32 v41, v63, v114
	v_add_f32_e32 v36, v63, v114
	ds_store_b64 v44, v[38:39] offset:384
	v_dual_add_f32 v38, v50, v63 :: v_dual_add_f32 v37, v51, v113
	v_sub_f32_e32 v40, v113, v115
	v_fma_f32 v50, -0.5, v36, v50
	v_add_f32_e32 v36, v113, v115
	s_delay_alu instid0(VALU_DEP_4) | instskip(NEXT) | instid1(VALU_DEP_2)
	v_add_f32_e32 v37, v37, v115
	v_dual_fmac_f32 v51, -0.5, v36 :: v_dual_add_f32 v36, v38, v114
	s_delay_alu instid0(VALU_DEP_4) | instskip(NEXT) | instid1(VALU_DEP_2)
	v_fmamk_f32 v38, v40, 0xbf5db3d7, v50
	v_dual_fmac_f32 v50, 0x3f5db3d7, v40 :: v_dual_fmamk_f32 v39, v41, 0x3f5db3d7, v51
	v_fmac_f32_e32 v51, 0xbf5db3d7, v41
	s_wait_loadcnt 0x0
	ds_store_2addr_b64 v42, v[36:37], v[38:39] offset1:24
	ds_store_b64 v42, v[50:51] offset:384
	global_wb scope:SCOPE_SE
	s_wait_dscnt 0x0
	s_barrier_signal -1
	s_barrier_wait -1
	global_inv scope:SCOPE_SE
	ds_load_2addr_b64 v[36:39], v161 offset0:120 offset1:183
	ds_load_2addr_b64 v[40:43], v156 offset0:112 offset1:175
	s_wait_dscnt 0x1
	v_mul_f32_e32 v44, v9, v37
	v_mul_f32_e32 v9, v9, v36
	s_delay_alu instid0(VALU_DEP_2) | instskip(NEXT) | instid1(VALU_DEP_2)
	v_fmac_f32_e32 v44, v8, v36
	v_fma_f32 v36, v8, v37, -v9
	s_wait_dscnt 0x0
	v_mul_f32_e32 v37, v11, v41
	v_mul_f32_e32 v8, v11, v40
	s_delay_alu instid0(VALU_DEP_2) | instskip(NEXT) | instid1(VALU_DEP_2)
	v_fmac_f32_e32 v37, v10, v40
	v_fma_f32 v40, v10, v41, -v8
	v_mul_f32_e32 v41, v5, v39
	v_mul_f32_e32 v5, v5, v38
	ds_load_2addr_b64 v[8:11], v155 offset0:110 offset1:173
	v_fmac_f32_e32 v41, v4, v38
	v_fma_f32 v38, v4, v39, -v5
	v_mul_f32_e32 v39, v7, v43
	v_mul_f32_e32 v4, v7, v42
	s_delay_alu instid0(VALU_DEP_2) | instskip(NEXT) | instid1(VALU_DEP_2)
	v_fmac_f32_e32 v39, v6, v42
	v_fma_f32 v42, v6, v43, -v4
	ds_load_2addr_b64 v[4:7], v157 offset0:118 offset1:181
	s_wait_dscnt 0x1
	v_mul_f32_e32 v46, v3, v9
	s_wait_dscnt 0x0
	s_delay_alu instid0(VALU_DEP_1) | instskip(SKIP_1) | instid1(VALU_DEP_2)
	v_dual_fmac_f32 v46, v2, v8 :: v_dual_mul_f32 v43, v1, v5
	v_mul_f32_e32 v1, v1, v4
	v_dual_mul_f32 v48, v21, v7 :: v_dual_fmac_f32 v43, v0, v4
	s_delay_alu instid0(VALU_DEP_2) | instskip(SKIP_1) | instid1(VALU_DEP_3)
	v_fma_f32 v45, v0, v5, -v1
	v_mul_f32_e32 v0, v3, v8
	v_fmac_f32_e32 v48, v20, v6
	s_delay_alu instid0(VALU_DEP_2) | instskip(SKIP_1) | instid1(VALU_DEP_1)
	v_fma_f32 v47, v2, v9, -v0
	v_mul_f32_e32 v0, v21, v6
	v_fma_f32 v49, v20, v7, -v0
	v_mul_f32_e32 v0, v23, v10
	ds_load_2addr_b64 v[4:7], v160 offset0:108 offset1:171
	v_fma_f32 v51, v22, v11, -v0
	ds_load_2addr_b64 v[0:3], v140 offset0:116 offset1:179
	s_wait_dscnt 0x1
	v_mul_f32_e32 v54, v15, v5
	s_wait_dscnt 0x0
	v_mul_f32_e32 v52, v13, v1
	v_mul_f32_e32 v56, v33, v3
	s_delay_alu instid0(VALU_DEP_3) | instskip(NEXT) | instid1(VALU_DEP_3)
	v_fmac_f32_e32 v54, v14, v4
	v_fmac_f32_e32 v52, v12, v0
	v_mul_f32_e32 v0, v13, v0
	s_delay_alu instid0(VALU_DEP_4) | instskip(NEXT) | instid1(VALU_DEP_2)
	v_fmac_f32_e32 v56, v32, v2
	v_fma_f32 v53, v12, v1, -v0
	v_mul_f32_e32 v0, v15, v4
	s_delay_alu instid0(VALU_DEP_1) | instskip(SKIP_1) | instid1(VALU_DEP_1)
	v_fma_f32 v55, v14, v5, -v0
	v_dual_mul_f32 v0, v33, v2 :: v_dual_mul_f32 v33, v35, v7
	v_fma_f32 v32, v32, v3, -v0
	v_mul_f32_e32 v0, v35, v6
	s_delay_alu instid0(VALU_DEP_3) | instskip(NEXT) | instid1(VALU_DEP_2)
	v_fmac_f32_e32 v33, v34, v6
	v_fma_f32 v34, v34, v7, -v0
	ds_load_2addr_b64 v[0:3], v141 offset0:114 offset1:177
	ds_load_2addr_b64 v[4:7], v158 offset0:106 offset1:169
	s_wait_dscnt 0x1
	v_mul_f32_e32 v35, v25, v1
	s_delay_alu instid0(VALU_DEP_1) | instskip(SKIP_2) | instid1(VALU_DEP_1)
	v_fmac_f32_e32 v35, v24, v0
	s_wait_dscnt 0x0
	v_dual_mul_f32 v0, v25, v0 :: v_dual_mul_f32 v25, v27, v5
	v_fma_f32 v24, v24, v1, -v0
	v_mul_f32_e32 v0, v27, v4
	s_delay_alu instid0(VALU_DEP_3) | instskip(SKIP_2) | instid1(VALU_DEP_4)
	v_fmac_f32_e32 v25, v26, v4
	v_mul_f32_e32 v27, v29, v3
	v_dual_mul_f32 v50, v23, v11 :: v_dual_add_f32 v1, v36, v40
	v_fma_f32 v26, v26, v5, -v0
	v_mul_f32_e32 v0, v29, v2
	s_delay_alu instid0(VALU_DEP_4) | instskip(NEXT) | instid1(VALU_DEP_4)
	v_fmac_f32_e32 v27, v28, v2
	v_dual_mul_f32 v29, v31, v7 :: v_dual_fmac_f32 v50, v22, v10
	s_delay_alu instid0(VALU_DEP_3) | instskip(SKIP_4) | instid1(VALU_DEP_3)
	v_fma_f32 v28, v28, v3, -v0
	ds_load_2addr_b64 v[2:5], v251 offset1:63
	v_mul_f32_e32 v0, v31, v6
	v_fmac_f32_e32 v29, v30, v6
	v_sub_f32_e32 v31, v36, v40
	v_fma_f32 v30, v30, v7, -v0
	s_wait_dscnt 0x0
	v_add_f32_e32 v0, v3, v36
	v_fma_f32 v21, -0.5, v1, v3
	v_sub_f32_e32 v36, v44, v37
	s_delay_alu instid0(VALU_DEP_3) | instskip(NEXT) | instid1(VALU_DEP_2)
	v_add_f32_e32 v15, v0, v40
	v_dual_add_f32 v0, v2, v44 :: v_dual_fmamk_f32 v23, v36, 0x3f5db3d7, v21
	s_delay_alu instid0(VALU_DEP_1) | instskip(SKIP_1) | instid1(VALU_DEP_1)
	v_dual_fmac_f32 v21, 0xbf5db3d7, v36 :: v_dual_add_f32 v14, v0, v37
	v_add_f32_e32 v0, v44, v37
	v_fma_f32 v20, -0.5, v0, v2
	ds_load_2addr_b64 v[6:9], v159 offset0:124 offset1:187
	ds_load_2addr_b64 v[10:13], v251 offset0:126 offset1:189
	;; [unrolled: 1-line block ×3, first 2 shown]
	global_wb scope:SCOPE_SE
	s_wait_dscnt 0x0
	s_barrier_signal -1
	s_barrier_wait -1
	v_fmamk_f32 v22, v31, 0xbf5db3d7, v20
	global_inv scope:SCOPE_SE
	v_fmac_f32_e32 v20, 0x3f5db3d7, v31
	scratch_load_b32 v31, off, off offset:252 th:TH_LOAD_LU ; 4-byte Folded Reload
	ds_store_2addr_b64 v251, v[14:15], v[22:23] offset1:72
	v_add_f32_e32 v14, v41, v39
	ds_store_b64 v251, v[20:21] offset:1152
	v_dual_add_f32 v21, v38, v42 :: v_dual_add_f32 v20, v4, v41
	v_sub_f32_e32 v22, v38, v42
	v_fma_f32 v4, -0.5, v14, v4
	s_delay_alu instid0(VALU_DEP_3) | instskip(SKIP_1) | instid1(VALU_DEP_2)
	v_dual_add_f32 v14, v5, v38 :: v_dual_fmac_f32 v5, -0.5, v21
	v_sub_f32_e32 v23, v41, v39
	v_dual_add_f32 v15, v14, v42 :: v_dual_add_f32 v14, v20, v39
	s_delay_alu instid0(VALU_DEP_4) | instskip(NEXT) | instid1(VALU_DEP_3)
	v_fmamk_f32 v20, v22, 0xbf5db3d7, v4
	v_dual_fmamk_f32 v21, v23, 0x3f5db3d7, v5 :: v_dual_fmac_f32 v4, 0x3f5db3d7, v22
	v_fmac_f32_e32 v5, 0xbf5db3d7, v23
	scratch_load_b32 v22, off, off offset:256 th:TH_LOAD_LU ; 4-byte Folded Reload
	v_sub_f32_e32 v23, v24, v26
	s_wait_loadcnt 0x1
	ds_store_2addr_b64 v31, v[14:15], v[20:21] offset1:72
	ds_store_b64 v31, v[4:5] offset:1152
	v_add_f32_e32 v4, v11, v45
	v_dual_add_f32 v15, v43, v46 :: v_dual_add_f32 v14, v45, v47
	v_dual_sub_f32 v20, v45, v47 :: v_dual_sub_f32 v21, v43, v46
	s_delay_alu instid0(VALU_DEP_3) | instskip(SKIP_1) | instid1(VALU_DEP_4)
	v_add_f32_e32 v5, v4, v47
	v_add_f32_e32 v4, v10, v43
	v_fma_f32 v10, -0.5, v15, v10
	v_fma_f32 v11, -0.5, v14, v11
	s_delay_alu instid0(VALU_DEP_3) | instskip(NEXT) | instid1(VALU_DEP_3)
	v_add_f32_e32 v4, v4, v46
	v_fmamk_f32 v14, v20, 0xbf5db3d7, v10
	v_fmac_f32_e32 v10, 0x3f5db3d7, v20
	s_clause 0x1
	scratch_load_b32 v20, off, off offset:260 th:TH_LOAD_LU
	scratch_load_b32 v31, off, off offset:236 th:TH_LOAD_LU
	v_fmamk_f32 v15, v21, 0x3f5db3d7, v11
	v_fmac_f32_e32 v11, 0xbf5db3d7, v21
	s_wait_loadcnt 0x2
	ds_store_2addr_b64 v22, v[4:5], v[14:15] offset1:72
	ds_store_b64 v22, v[10:11] offset:1152
	v_dual_add_f32 v4, v48, v50 :: v_dual_add_f32 v11, v49, v51
	v_add_f32_e32 v10, v12, v48
	v_dual_sub_f32 v14, v49, v51 :: v_dual_sub_f32 v15, v48, v50
	s_delay_alu instid0(VALU_DEP_3) | instskip(NEXT) | instid1(VALU_DEP_4)
	v_fma_f32 v12, -0.5, v4, v12
	v_dual_add_f32 v4, v13, v49 :: v_dual_fmac_f32 v13, -0.5, v11
	s_delay_alu instid0(VALU_DEP_1) | instskip(NEXT) | instid1(VALU_DEP_3)
	v_dual_add_f32 v5, v4, v51 :: v_dual_add_f32 v4, v10, v50
	v_fmamk_f32 v10, v14, 0xbf5db3d7, v12
	s_delay_alu instid0(VALU_DEP_3)
	v_dual_fmamk_f32 v11, v15, 0x3f5db3d7, v13 :: v_dual_fmac_f32 v12, 0x3f5db3d7, v14
	v_dual_fmac_f32 v13, 0xbf5db3d7, v15 :: v_dual_add_f32 v14, v6, v52
	v_sub_f32_e32 v15, v52, v54
	s_wait_loadcnt 0x1
	ds_store_2addr_b64 v20, v[4:5], v[10:11] offset1:72
	v_dual_add_f32 v4, v52, v54 :: v_dual_add_f32 v5, v53, v55
	ds_store_b64 v20, v[12:13] offset:1152
	v_dual_add_f32 v12, v7, v53 :: v_dual_sub_f32 v13, v53, v55
	v_fma_f32 v10, -0.5, v4, v6
	v_fma_f32 v11, -0.5, v5, v7
	s_delay_alu instid0(VALU_DEP_3) | instskip(NEXT) | instid1(VALU_DEP_3)
	v_dual_add_f32 v4, v14, v54 :: v_dual_add_f32 v5, v12, v55
	v_fmamk_f32 v6, v13, 0xbf5db3d7, v10
	s_delay_alu instid0(VALU_DEP_3)
	v_dual_fmamk_f32 v7, v15, 0x3f5db3d7, v11 :: v_dual_fmac_f32 v10, 0x3f5db3d7, v13
	v_fmac_f32_e32 v11, 0xbf5db3d7, v15
	s_wait_loadcnt 0x0
	ds_store_2addr_b64 v31, v[4:5], v[6:7] offset1:72
	v_add_f32_e32 v4, v56, v33
	v_add_f32_e32 v5, v32, v34
	;; [unrolled: 1-line block ×3, first 2 shown]
	v_sub_f32_e32 v7, v32, v34
	ds_store_b64 v31, v[10:11] offset:1152
	v_fma_f32 v8, -0.5, v4, v8
	v_dual_add_f32 v4, v9, v32 :: v_dual_fmac_f32 v9, -0.5, v5
	v_sub_f32_e32 v5, v56, v33
	v_add_f32_e32 v12, v6, v33
	s_delay_alu instid0(VALU_DEP_3)
	v_dual_add_f32 v6, v35, v25 :: v_dual_add_f32 v13, v4, v34
	v_add_f32_e32 v4, v1, v24
	v_fmamk_f32 v14, v7, 0xbf5db3d7, v8
	v_dual_fmac_f32 v8, 0x3f5db3d7, v7 :: v_dual_fmamk_f32 v15, v5, 0x3f5db3d7, v9
	v_fmac_f32_e32 v9, 0xbf5db3d7, v5
	v_add_f32_e32 v5, v0, v35
	v_add_f32_e32 v7, v24, v26
	v_fma_f32 v0, -0.5, v6, v0
	v_dual_add_f32 v21, v4, v26 :: v_dual_add_f32 v4, v27, v29
	v_sub_f32_e32 v6, v35, v25
	s_delay_alu instid0(VALU_DEP_4) | instskip(NEXT) | instid1(VALU_DEP_4)
	v_fma_f32 v1, -0.5, v7, v1
	v_fmamk_f32 v22, v23, 0xbf5db3d7, v0
	v_fmac_f32_e32 v0, 0x3f5db3d7, v23
	v_add_f32_e32 v23, v2, v27
	v_fma_f32 v2, -0.5, v4, v2
	v_sub_f32_e32 v24, v28, v30
	scratch_load_b32 v11, off, off offset:244 th:TH_LOAD_LU ; 4-byte Folded Reload
	v_add_f32_e32 v20, v5, v25
	v_dual_add_f32 v4, v23, v29 :: v_dual_fmamk_f32 v23, v6, 0x3f5db3d7, v1
	v_dual_fmac_f32 v1, 0xbf5db3d7, v6 :: v_dual_fmamk_f32 v6, v24, 0xbf5db3d7, v2
	v_fmac_f32_e32 v2, 0x3f5db3d7, v24
	scratch_load_b32 v24, off, off offset:264 th:TH_LOAD_LU ; 4-byte Folded Reload
	s_wait_loadcnt 0x1
	ds_store_2addr_b64 v11, v[12:13], v[14:15] offset1:72
	ds_store_b64 v11, v[8:9] offset:1152
	scratch_load_b32 v8, off, off offset:248 th:TH_LOAD_LU ; 4-byte Folded Reload
	v_add_f32_e32 v5, v28, v30
	v_add_f32_e32 v7, v3, v28
	v_sub_f32_e32 v25, v27, v29
	s_delay_alu instid0(VALU_DEP_3) | instskip(SKIP_1) | instid1(VALU_DEP_3)
	v_fmac_f32_e32 v3, -0.5, v5
	s_wait_loadcnt 0x1
	v_dual_add_f32 v5, v7, v30 :: v_dual_add_nc_u32 v10, 0x2800, v24
	s_delay_alu instid0(VALU_DEP_2)
	v_fmamk_f32 v7, v25, 0x3f5db3d7, v3
	v_fmac_f32_e32 v3, 0xbf5db3d7, v25
	s_wait_loadcnt 0x0
	ds_store_2addr_b64 v8, v[20:21], v[22:23] offset1:72
	ds_store_b64 v8, v[0:1] offset:1152
	ds_store_2addr_b64 v10, v[4:5], v[6:7] offset0:16 offset1:88
	ds_store_b64 v24, v[2:3] offset:11520
	global_wb scope:SCOPE_SE
	s_wait_dscnt 0x0
	s_barrier_signal -1
	s_barrier_wait -1
	global_inv scope:SCOPE_SE
	ds_load_2addr_b64 v[12:15], v251 offset1:63
	ds_load_2addr_b64 v[24:27], v157 offset0:46 offset1:136
	ds_load_2addr_b64 v[40:43], v141 offset0:96 offset1:159
	;; [unrolled: 1-line block ×5, first 2 shown]
	ds_load_b64 v[0:1], v251 offset:11376
	ds_load_2addr_b64 v[8:11], v251 offset0:126 offset1:216
	ds_load_2addr_b64 v[48:51], v154 offset0:176 offset1:239
	;; [unrolled: 1-line block ×4, first 2 shown]
	s_and_saveexec_b32 s0, vcc_lo
	s_cbranch_execz .LBB0_7
; %bb.6:
	v_add_nc_u32_e32 v2, 0x1300, v251
	ds_load_2addr_b64 v[140:143], v2 offset0:13 offset1:229
	v_add_nc_u32_e32 v2, 0x500, v251
	ds_load_2addr_b64 v[144:147], v155 offset0:29 offset1:245
	ds_load_b64 v[152:153], v251 offset:11880
	ds_load_2addr_b64 v[4:7], v2 offset0:29 offset1:245
	s_wait_dscnt 0x3
	v_dual_mov_b32 v3, v141 :: v_dual_mov_b32 v2, v140
.LBB0_7:
	s_wait_alu 0xfffe
	s_or_b32 exec_lo, exec_lo, s0
	s_wait_dscnt 0x2
	v_dual_mul_f32 v52, v17, v11 :: v_dual_mul_f32 v53, v19, v49
	v_mul_f32_e32 v17, v17, v10
	v_dual_mul_f32 v19, v19, v48 :: v_dual_mul_f32 v54, v89, v27
	s_delay_alu instid0(VALU_DEP_3) | instskip(SKIP_1) | instid1(VALU_DEP_4)
	v_dual_fmac_f32 v52, v16, v10 :: v_dual_fmac_f32 v53, v18, v48
	v_mul_f32_e32 v10, v89, v26
	v_fma_f32 v11, v16, v11, -v17
	v_mul_f32_e32 v17, v91, v41
	v_fma_f32 v16, v18, v49, -v19
	v_dual_fmac_f32 v54, v88, v26 :: v_dual_mul_f32 v19, v93, v23
	v_fma_f32 v10, v88, v27, -v10
	v_mul_f32_e32 v18, v91, v40
	v_dual_mul_f32 v26, v93, v22 :: v_dual_mul_f32 v27, v95, v37
	v_fmac_f32_e32 v17, v90, v40
	v_fmac_f32_e32 v19, v92, v22
	s_delay_alu instid0(VALU_DEP_4) | instskip(NEXT) | instid1(VALU_DEP_4)
	v_fma_f32 v18, v90, v41, -v18
	v_fma_f32 v22, v92, v23, -v26
	v_dual_fmac_f32 v27, v94, v36 :: v_dual_mul_f32 v40, v79, v51
	s_wait_dscnt 0x1
	v_dual_mul_f32 v23, v95, v36 :: v_dual_mul_f32 v26, v77, v45
	v_dual_mul_f32 v36, v77, v44 :: v_dual_mul_f32 v41, v79, v50
	s_delay_alu instid0(VALU_DEP_3) | instskip(NEXT) | instid1(VALU_DEP_3)
	v_fmac_f32_e32 v40, v78, v50
	v_fma_f32 v23, v94, v37, -v23
	s_delay_alu instid0(VALU_DEP_4) | instskip(NEXT) | instid1(VALU_DEP_4)
	v_fmac_f32_e32 v26, v76, v44
	v_fma_f32 v36, v76, v45, -v36
	v_fma_f32 v37, v78, v51, -v41
	v_dual_mul_f32 v41, v85, v33 :: v_dual_mul_f32 v48, v87, v42
	v_dual_mul_f32 v44, v85, v32 :: v_dual_mul_f32 v45, v87, v43
	s_wait_dscnt 0x0
	v_mul_f32_e32 v49, v65, v29
	s_delay_alu instid0(VALU_DEP_3) | instskip(NEXT) | instid1(VALU_DEP_3)
	v_dual_fmac_f32 v41, v84, v32 :: v_dual_mul_f32 v50, v149, v31
	v_fma_f32 v32, v84, v33, -v44
	v_fmac_f32_e32 v45, v86, v42
	v_fma_f32 v33, v86, v43, -v48
	v_dual_mul_f32 v42, v67, v39 :: v_dual_fmac_f32 v49, v64, v28
	v_mul_f32_e32 v48, v73, v46
	v_dual_mul_f32 v28, v65, v28 :: v_dual_mul_f32 v43, v67, v38
	v_mul_f32_e32 v44, v73, v47
	s_delay_alu instid0(VALU_DEP_4) | instskip(NEXT) | instid1(VALU_DEP_4)
	v_fmac_f32_e32 v42, v66, v38
	v_fma_f32 v38, v72, v47, -v48
	s_delay_alu instid0(VALU_DEP_4)
	v_fma_f32 v28, v64, v29, -v28
	v_dual_mul_f32 v47, v81, v34 :: v_dual_mul_f32 v48, v83, v21
	v_fmac_f32_e32 v44, v72, v46
	v_mul_f32_e32 v46, v81, v35
	v_fma_f32 v29, v66, v39, -v43
	v_mul_f32_e32 v43, v75, v24
	v_dual_mul_f32 v39, v75, v25 :: v_dual_fmac_f32 v48, v82, v20
	v_mul_f32_e32 v51, v151, v1
	v_mul_f32_e32 v20, v83, v20
	s_delay_alu instid0(VALU_DEP_4)
	v_fma_f32 v43, v74, v25, -v43
	v_mul_f32_e32 v25, v151, v0
	v_dual_fmac_f32 v39, v74, v24 :: v_dual_fmac_f32 v46, v80, v34
	v_dual_mul_f32 v24, v149, v30 :: v_dual_fmac_f32 v51, v150, v0
	v_fma_f32 v55, v82, v21, -v20
	v_fmac_f32_e32 v50, v148, v30
	v_fma_f32 v57, v150, v1, -v25
	v_add_f32_e32 v1, v11, v23
	v_add_f32_e32 v0, v52, v27
	v_sub_f32_e32 v11, v11, v23
	v_add_f32_e32 v21, v53, v19
	v_add_f32_e32 v23, v16, v22
	v_fma_f32 v56, v148, v31, -v24
	v_dual_sub_f32 v19, v53, v19 :: v_dual_add_f32 v24, v10, v18
	v_sub_f32_e32 v16, v16, v22
	v_add_f32_e32 v22, v54, v17
	v_dual_sub_f32 v20, v52, v27 :: v_dual_add_f32 v25, v23, v1
	v_sub_f32_e32 v17, v17, v54
	v_dual_sub_f32 v10, v18, v10 :: v_dual_sub_f32 v27, v21, v0
	s_delay_alu instid0(VALU_DEP_4)
	v_dual_add_f32 v18, v21, v0 :: v_dual_sub_f32 v31, v0, v22
	v_fma_f32 v47, v80, v35, -v47
	v_dual_sub_f32 v30, v23, v1 :: v_dual_sub_f32 v23, v24, v23
	v_dual_sub_f32 v34, v1, v24 :: v_dual_sub_f32 v21, v22, v21
	v_dual_add_f32 v0, v17, v19 :: v_dual_add_f32 v1, v10, v16
	v_dual_sub_f32 v35, v17, v19 :: v_dual_sub_f32 v52, v10, v16
	v_dual_sub_f32 v19, v19, v20 :: v_dual_add_f32 v18, v22, v18
	v_add_f32_e32 v22, v24, v25
	v_dual_sub_f32 v17, v20, v17 :: v_dual_sub_f32 v10, v11, v10
	v_sub_f32_e32 v16, v16, v11
	v_dual_add_f32 v20, v0, v20 :: v_dual_add_f32 v11, v1, v11
	s_delay_alu instid0(VALU_DEP_4) | instskip(SKIP_3) | instid1(VALU_DEP_4)
	v_add_f32_e32 v1, v13, v22
	v_mul_f32_e32 v13, 0x3f4a47b2, v34
	v_dual_add_f32 v0, v12, v18 :: v_dual_mul_f32 v25, 0x3d64c772, v23
	v_mul_f32_e32 v34, 0x3f08b237, v52
	v_fmamk_f32 v22, v22, 0xbf955555, v1
	s_delay_alu instid0(VALU_DEP_4) | instskip(SKIP_3) | instid1(VALU_DEP_4)
	v_fmamk_f32 v23, v23, 0x3d64c772, v13
	v_mul_f32_e32 v12, 0x3f4a47b2, v31
	v_mul_f32_e32 v31, 0x3f08b237, v35
	v_dual_mul_f32 v35, 0xbf5ff5aa, v19 :: v_dual_mul_f32 v52, 0xbf5ff5aa, v16
	v_dual_add_f32 v23, v23, v22 :: v_dual_mul_f32 v24, 0x3d64c772, v21
	s_delay_alu instid0(VALU_DEP_4)
	v_fmamk_f32 v21, v21, 0x3d64c772, v12
	v_fma_f32 v25, 0x3f3bfb3b, v30, -v25
	v_fma_f32 v12, 0xbf3bfb3b, v27, -v12
	;; [unrolled: 1-line block ×4, first 2 shown]
	v_dual_fmamk_f32 v27, v17, 0xbeae86e6, v31 :: v_dual_fmamk_f32 v30, v10, 0xbeae86e6, v34
	v_fma_f32 v19, 0xbf5ff5aa, v19, -v31
	v_fma_f32 v31, 0xbf5ff5aa, v16, -v34
	;; [unrolled: 1-line block ×4, first 2 shown]
	v_dual_fmac_f32 v27, 0xbee1c552, v20 :: v_dual_fmac_f32 v30, 0xbee1c552, v11
	v_fmamk_f32 v18, v18, 0xbf955555, v0
	v_fmac_f32_e32 v19, 0xbee1c552, v20
	s_delay_alu instid0(VALU_DEP_4) | instskip(SKIP_1) | instid1(VALU_DEP_4)
	v_dual_fmac_f32 v35, 0xbee1c552, v11 :: v_dual_fmac_f32 v34, 0xbee1c552, v20
	v_fmac_f32_e32 v31, 0xbee1c552, v11
	v_dual_sub_f32 v11, v23, v27 :: v_dual_add_f32 v52, v21, v18
	v_add_f32_e32 v21, v24, v18
	v_add_f32_e32 v24, v25, v22
	;; [unrolled: 1-line block ×4, first 2 shown]
	v_dual_add_f32 v10, v30, v52 :: v_dual_add_f32 v23, v27, v23
	s_delay_alu instid0(VALU_DEP_4) | instskip(NEXT) | instid1(VALU_DEP_3)
	v_add_f32_e32 v17, v19, v24
	v_dual_add_f32 v12, v35, v25 :: v_dual_sub_f32 v13, v22, v34
	v_sub_f32_e32 v16, v21, v31
	v_dual_add_f32 v18, v31, v21 :: v_dual_sub_f32 v19, v24, v19
	v_dual_sub_f32 v20, v25, v35 :: v_dual_add_f32 v21, v34, v22
	v_sub_f32_e32 v22, v52, v30
	v_dual_add_f32 v24, v26, v42 :: v_dual_add_f32 v25, v36, v29
	v_dual_sub_f32 v26, v26, v42 :: v_dual_sub_f32 v27, v36, v29
	v_dual_add_f32 v29, v40, v49 :: v_dual_add_f32 v30, v37, v28
	v_dual_sub_f32 v31, v40, v49 :: v_dual_sub_f32 v28, v37, v28
	v_dual_add_f32 v35, v32, v33 :: v_dual_sub_f32 v32, v33, v32
	v_add_f32_e32 v34, v41, v45
	v_sub_f32_e32 v36, v45, v41
	v_dual_add_f32 v37, v30, v25 :: v_dual_sub_f32 v40, v29, v24
	s_delay_alu instid0(VALU_DEP_4) | instskip(NEXT) | instid1(VALU_DEP_4)
	v_add_f32_e32 v45, v32, v28
	v_dual_add_f32 v33, v29, v24 :: v_dual_sub_f32 v24, v24, v34
	v_dual_sub_f32 v41, v30, v25 :: v_dual_sub_f32 v30, v35, v30
	v_dual_sub_f32 v25, v25, v35 :: v_dual_sub_f32 v52, v32, v28
	v_dual_sub_f32 v29, v34, v29 :: v_dual_add_f32 v42, v36, v31
	s_delay_alu instid0(VALU_DEP_4) | instskip(SKIP_4) | instid1(VALU_DEP_4)
	v_dual_sub_f32 v32, v27, v32 :: v_dual_add_f32 v33, v34, v33
	v_dual_add_f32 v34, v35, v37 :: v_dual_sub_f32 v49, v36, v31
	v_dual_sub_f32 v31, v31, v26 :: v_dual_sub_f32 v36, v26, v36
	v_sub_f32_e32 v28, v28, v27
	v_add_f32_e32 v27, v45, v27
	v_dual_add_f32 v15, v15, v34 :: v_dual_add_f32 v14, v14, v33
	v_mul_f32_e32 v37, 0x3d64c772, v30
	v_dual_add_f32 v26, v42, v26 :: v_dual_mul_f32 v25, 0x3f4a47b2, v25
	v_mul_f32_e32 v35, 0x3d64c772, v29
	v_dual_mul_f32 v42, 0x3f08b237, v49 :: v_dual_mul_f32 v45, 0x3f08b237, v52
	v_dual_mul_f32 v49, 0xbf5ff5aa, v31 :: v_dual_mul_f32 v52, 0xbf5ff5aa, v28
	v_dual_fmamk_f32 v33, v33, 0xbf955555, v14 :: v_dual_fmamk_f32 v34, v34, 0xbf955555, v15
	v_mul_f32_e32 v24, 0x3f4a47b2, v24
	v_fmamk_f32 v30, v30, 0x3d64c772, v25
	v_fma_f32 v35, 0x3f3bfb3b, v40, -v35
	v_fma_f32 v37, 0x3f3bfb3b, v41, -v37
	;; [unrolled: 1-line block ×3, first 2 shown]
	v_fmamk_f32 v29, v29, 0x3d64c772, v24
	v_fma_f32 v24, 0xbf3bfb3b, v40, -v24
	v_fmamk_f32 v40, v36, 0xbeae86e6, v42
	v_fmamk_f32 v41, v32, 0xbeae86e6, v45
	v_fma_f32 v31, 0xbf5ff5aa, v31, -v42
	v_fma_f32 v42, 0xbf5ff5aa, v28, -v45
	;; [unrolled: 1-line block ×4, first 2 shown]
	v_dual_add_f32 v49, v30, v34 :: v_dual_add_f32 v30, v35, v33
	v_add_f32_e32 v45, v29, v33
	s_delay_alu instid0(VALU_DEP_3) | instskip(SKIP_4) | instid1(VALU_DEP_4)
	v_dual_add_f32 v35, v37, v34 :: v_dual_fmac_f32 v32, 0xbee1c552, v27
	v_dual_add_f32 v33, v24, v33 :: v_dual_fmac_f32 v40, 0xbee1c552, v26
	;; [unrolled: 1-line block ×3, first 2 shown]
	v_fmac_f32_e32 v36, 0xbee1c552, v26
	v_dual_fmac_f32 v31, 0xbee1c552, v26 :: v_dual_fmac_f32 v42, 0xbee1c552, v27
	v_dual_sub_f32 v25, v49, v40 :: v_dual_add_f32 v26, v32, v33
	s_delay_alu instid0(VALU_DEP_3) | instskip(NEXT) | instid1(VALU_DEP_3)
	v_dual_add_f32 v24, v41, v45 :: v_dual_sub_f32 v27, v34, v36
	v_dual_sub_f32 v28, v30, v42 :: v_dual_add_f32 v29, v31, v35
	v_dual_add_f32 v30, v42, v30 :: v_dual_sub_f32 v31, v35, v31
	v_dual_sub_f32 v32, v33, v32 :: v_dual_add_f32 v33, v36, v34
	v_dual_sub_f32 v34, v45, v41 :: v_dual_add_f32 v41, v39, v50
	v_dual_add_f32 v35, v40, v49 :: v_dual_add_f32 v42, v43, v56
	v_dual_add_f32 v36, v44, v51 :: v_dual_add_f32 v37, v38, v57
	v_dual_sub_f32 v40, v44, v51 :: v_dual_sub_f32 v39, v39, v50
	v_dual_sub_f32 v38, v38, v57 :: v_dual_sub_f32 v43, v43, v56
	v_dual_add_f32 v44, v46, v48 :: v_dual_add_f32 v45, v47, v55
	v_dual_sub_f32 v46, v48, v46 :: v_dual_sub_f32 v47, v55, v47
	v_dual_add_f32 v48, v41, v36 :: v_dual_add_f32 v49, v42, v37
	v_dual_sub_f32 v50, v41, v36 :: v_dual_sub_f32 v51, v42, v37
	s_delay_alu instid0(VALU_DEP_4)
	v_dual_sub_f32 v36, v36, v44 :: v_dual_sub_f32 v37, v37, v45
	v_dual_sub_f32 v41, v44, v41 :: v_dual_sub_f32 v42, v45, v42
	v_add_f32_e32 v53, v47, v43
	v_dual_sub_f32 v54, v46, v39 :: v_dual_add_f32 v45, v45, v49
	v_dual_sub_f32 v55, v47, v43 :: v_dual_add_f32 v44, v44, v48
	v_dual_add_f32 v52, v46, v39 :: v_dual_sub_f32 v39, v39, v40
	v_dual_sub_f32 v46, v40, v46 :: v_dual_sub_f32 v47, v38, v47
	s_delay_alu instid0(VALU_DEP_3)
	v_dual_sub_f32 v43, v43, v38 :: v_dual_add_f32 v8, v8, v44
	v_dual_add_f32 v38, v53, v38 :: v_dual_mul_f32 v37, 0x3f4a47b2, v37
	v_dual_add_f32 v9, v9, v45 :: v_dual_mul_f32 v36, 0x3f4a47b2, v36
	v_add_f32_e32 v40, v52, v40
	v_dual_mul_f32 v48, 0x3d64c772, v41 :: v_dual_mul_f32 v49, 0x3d64c772, v42
	v_dual_mul_f32 v52, 0x3f08b237, v54 :: v_dual_mul_f32 v53, 0x3f08b237, v55
	s_delay_alu instid0(VALU_DEP_4)
	v_dual_fmamk_f32 v44, v44, 0xbf955555, v8 :: v_dual_fmamk_f32 v45, v45, 0xbf955555, v9
	v_dual_fmamk_f32 v41, v41, 0x3d64c772, v36 :: v_dual_fmamk_f32 v42, v42, 0x3d64c772, v37
	v_mul_f32_e32 v54, 0xbf5ff5aa, v39
	v_mul_f32_e32 v55, 0xbf5ff5aa, v43
	v_fma_f32 v48, 0x3f3bfb3b, v50, -v48
	v_fma_f32 v49, 0x3f3bfb3b, v51, -v49
	;; [unrolled: 1-line block ×4, first 2 shown]
	v_dual_fmamk_f32 v50, v46, 0xbeae86e6, v52 :: v_dual_fmamk_f32 v51, v47, 0xbeae86e6, v53
	v_fma_f32 v52, 0xbf5ff5aa, v39, -v52
	v_fma_f32 v43, 0xbf5ff5aa, v43, -v53
	v_add_f32_e32 v53, v41, v44
	v_fma_f32 v46, 0x3eae86e6, v46, -v54
	v_add_f32_e32 v54, v42, v45
	;; [unrolled: 2-line block ×3, first 2 shown]
	v_dual_add_f32 v48, v49, v45 :: v_dual_fmac_f32 v51, 0xbee1c552, v38
	s_delay_alu instid0(VALU_DEP_3) | instskip(SKIP_3) | instid1(VALU_DEP_3)
	v_dual_add_f32 v44, v36, v44 :: v_dual_fmac_f32 v47, 0xbee1c552, v38
	v_dual_add_f32 v45, v37, v45 :: v_dual_fmac_f32 v50, 0xbee1c552, v40
	v_dual_fmac_f32 v43, 0xbee1c552, v38 :: v_dual_fmac_f32 v52, 0xbee1c552, v40
	v_fmac_f32_e32 v46, 0xbee1c552, v40
	v_dual_add_f32 v38, v47, v44 :: v_dual_sub_f32 v37, v54, v50
	s_delay_alu instid0(VALU_DEP_3)
	v_dual_sub_f32 v40, v42, v43 :: v_dual_add_f32 v41, v52, v48
	v_dual_add_f32 v42, v43, v42 :: v_dual_sub_f32 v43, v48, v52
	v_dual_sub_f32 v44, v44, v47 :: v_dual_add_f32 v47, v50, v54
	v_dual_add_f32 v36, v51, v53 :: v_dual_sub_f32 v39, v45, v46
	v_dual_add_f32 v45, v46, v45 :: v_dual_sub_f32 v46, v53, v51
	ds_store_b64 v251, v[10:11] offset:1728
	ds_store_b64 v251, v[12:13] offset:3456
	ds_store_b64 v251, v[16:17] offset:5184
	ds_store_b64 v251, v[18:19] offset:6912
	ds_store_b64 v251, v[20:21] offset:8640
	ds_store_b64 v251, v[22:23] offset:10368
	ds_store_2addr_b64 v251, v[0:1], v[14:15] offset1:63
	ds_store_b64 v251, v[28:29] offset:5688
	ds_store_b64 v251, v[30:31] offset:7416
	ds_store_b64 v251, v[32:33] offset:9144
	ds_store_b64 v251, v[34:35] offset:10872
	ds_store_b64 v251, v[26:27] offset:3960
	ds_store_b64 v251, v[8:9] offset:1008
	ds_store_2addr_b64 v154, v[24:25], v[36:37] offset0:23 offset1:86
	ds_store_b64 v251, v[38:39] offset:4464
	ds_store_b64 v251, v[40:41] offset:6192
	;; [unrolled: 1-line block ×5, first 2 shown]
	s_and_saveexec_b32 s0, vcc_lo
	s_cbranch_execz .LBB0_9
; %bb.8:
	v_dual_mul_f32 v0, v129, v7 :: v_dual_mul_f32 v1, v135, v145
	v_dual_mul_f32 v8, v133, v143 :: v_dual_mul_f32 v11, v139, v153
	v_mul_f32_e32 v9, v131, v3
	s_delay_alu instid0(VALU_DEP_3) | instskip(NEXT) | instid1(VALU_DEP_3)
	v_dual_mul_f32 v10, v137, v147 :: v_dual_fmac_f32 v1, v134, v144
	v_dual_fmac_f32 v8, v132, v142 :: v_dual_fmac_f32 v11, v138, v152
	s_delay_alu instid0(VALU_DEP_3) | instskip(NEXT) | instid1(VALU_DEP_3)
	v_fmac_f32_e32 v9, v130, v2
	v_fmac_f32_e32 v10, v136, v146
	v_mul_f32_e32 v14, v139, v152
	s_delay_alu instid0(VALU_DEP_4) | instskip(SKIP_3) | instid1(VALU_DEP_3)
	v_sub_f32_e32 v12, v1, v8
	v_fmac_f32_e32 v0, v128, v6
	v_dual_mul_f32 v18, v137, v146 :: v_dual_mul_f32 v19, v135, v144
	v_sub_f32_e32 v13, v9, v10
	v_dual_mul_f32 v6, v129, v6 :: v_dual_sub_f32 v15, v0, v11
	v_fma_f32 v14, v138, v153, -v14
	s_delay_alu instid0(VALU_DEP_4) | instskip(NEXT) | instid1(VALU_DEP_4)
	v_fma_f32 v18, v136, v147, -v18
	v_sub_f32_e32 v16, v12, v13
	s_delay_alu instid0(VALU_DEP_4)
	v_fma_f32 v6, v128, v7, -v6
	v_mul_f32_e32 v7, v133, v142
	v_sub_f32_e32 v17, v15, v12
	v_fma_f32 v19, v134, v145, -v19
	v_mul_f32_e32 v16, 0x3f08b237, v16
	v_mul_f32_e32 v2, v131, v2
	v_fma_f32 v7, v132, v143, -v7
	s_delay_alu instid0(VALU_DEP_2) | instskip(SKIP_3) | instid1(VALU_DEP_3)
	v_fma_f32 v2, v130, v3, -v2
	v_add_f32_e32 v3, v12, v13
	v_dual_fmamk_f32 v21, v17, 0xbeae86e6, v16 :: v_dual_add_f32 v12, v14, v6
	v_sub_f32_e32 v13, v13, v15
	v_add_f32_e32 v22, v3, v15
	v_dual_add_f32 v3, v7, v19 :: v_dual_add_f32 v20, v18, v2
	v_dual_sub_f32 v7, v19, v7 :: v_dual_sub_f32 v2, v2, v18
	s_delay_alu instid0(VALU_DEP_2) | instskip(NEXT) | instid1(VALU_DEP_3)
	v_sub_f32_e32 v24, v12, v3
	v_add_f32_e32 v23, v20, v12
	v_fmac_f32_e32 v21, 0xbee1c552, v22
	s_delay_alu instid0(VALU_DEP_2) | instskip(NEXT) | instid1(VALU_DEP_4)
	v_add_f32_e32 v23, v3, v23
	v_dual_add_f32 v9, v10, v9 :: v_dual_mul_f32 v10, 0x3f4a47b2, v24
	v_add_f32_e32 v11, v11, v0
	v_dual_sub_f32 v0, v3, v20 :: v_dual_add_f32 v3, v8, v1
	s_delay_alu instid0(VALU_DEP_4) | instskip(NEXT) | instid1(VALU_DEP_2)
	v_dual_add_f32 v1, v5, v23 :: v_dual_sub_f32 v12, v20, v12
	v_mul_f32_e32 v8, 0x3d64c772, v0
	s_delay_alu instid0(VALU_DEP_4) | instskip(NEXT) | instid1(VALU_DEP_4)
	v_dual_fmamk_f32 v24, v0, 0x3d64c772, v10 :: v_dual_add_f32 v5, v9, v11
	v_sub_f32_e32 v0, v11, v3
	s_delay_alu instid0(VALU_DEP_1) | instskip(NEXT) | instid1(VALU_DEP_1)
	v_dual_add_f32 v5, v3, v5 :: v_dual_mul_f32 v18, 0x3f4a47b2, v0
	v_dual_fmamk_f32 v23, v23, 0xbf955555, v1 :: v_dual_add_f32 v0, v4, v5
	v_dual_sub_f32 v19, v3, v9 :: v_dual_sub_f32 v4, v6, v14
	s_delay_alu instid0(VALU_DEP_2) | instskip(NEXT) | instid1(VALU_DEP_3)
	v_dual_add_f32 v14, v24, v23 :: v_dual_sub_f32 v3, v7, v2
	v_fmamk_f32 v5, v5, 0xbf955555, v0
	s_delay_alu instid0(VALU_DEP_3) | instskip(NEXT) | instid1(VALU_DEP_4)
	v_fmamk_f32 v6, v19, 0x3d64c772, v18
	v_sub_f32_e32 v24, v4, v7
	v_sub_f32_e32 v9, v9, v11
	v_mul_f32_e32 v25, 0x3f08b237, v3
	v_dual_sub_f32 v11, v2, v4 :: v_dual_add_f32 v2, v7, v2
	v_mul_f32_e32 v15, 0x3d64c772, v19
	s_delay_alu instid0(VALU_DEP_3) | instskip(SKIP_1) | instid1(VALU_DEP_4)
	v_dual_add_f32 v19, v6, v5 :: v_dual_fmamk_f32 v26, v24, 0xbeae86e6, v25
	v_fma_f32 v7, 0xbf3bfb3b, v9, -v18
	v_add_f32_e32 v2, v2, v4
	v_fma_f32 v4, 0x3f3bfb3b, v12, -v8
	v_mul_f32_e32 v6, 0xbf5ff5aa, v13
	v_fma_f32 v8, 0xbf5ff5aa, v13, -v16
	v_dual_add_f32 v20, v7, v5 :: v_dual_add_f32 v3, v21, v14
	v_sub_f32_e32 v13, v14, v21
	s_delay_alu instid0(VALU_DEP_4) | instskip(SKIP_3) | instid1(VALU_DEP_3)
	v_fma_f32 v17, 0x3eae86e6, v17, -v6
	v_fma_f32 v6, 0xbf3bfb3b, v12, -v10
	v_add_nc_u32_e32 v14, 0x500, v251
	v_add_nc_u32_e32 v16, 0x2000, v251
	v_dual_fmac_f32 v17, 0xbee1c552, v22 :: v_dual_add_f32 v18, v6, v23
	v_mul_f32_e32 v10, 0xbf5ff5aa, v11
	v_fma_f32 v6, 0x3f3bfb3b, v9, -v15
	v_dual_add_f32 v9, v4, v23 :: v_dual_fmac_f32 v8, 0xbee1c552, v22
	v_fmac_f32_e32 v26, 0xbee1c552, v2
	s_delay_alu instid0(VALU_DEP_3) | instskip(SKIP_1) | instid1(VALU_DEP_4)
	v_dual_add_f32 v12, v6, v5 :: v_dual_add_nc_u32 v15, 0x1300, v251
	v_add_f32_e32 v5, v17, v18
	v_sub_f32_e32 v7, v9, v8
	v_fma_f32 v10, 0x3eae86e6, v24, -v10
	s_delay_alu instid0(VALU_DEP_1) | instskip(SKIP_1) | instid1(VALU_DEP_2)
	v_dual_add_f32 v9, v8, v9 :: v_dual_fmac_f32 v10, 0xbee1c552, v2
	v_fma_f32 v11, 0xbf5ff5aa, v11, -v25
	v_sub_f32_e32 v4, v20, v10
	s_delay_alu instid0(VALU_DEP_2) | instskip(SKIP_1) | instid1(VALU_DEP_2)
	v_dual_fmac_f32 v11, 0xbee1c552, v2 :: v_dual_add_f32 v10, v10, v20
	v_sub_f32_e32 v2, v19, v26
	v_add_f32_e32 v6, v11, v12
	v_sub_f32_e32 v8, v12, v11
	v_add_f32_e32 v12, v26, v19
	v_sub_f32_e32 v11, v18, v17
	ds_store_2addr_b64 v14, v[0:1], v[12:13] offset0:29 offset1:245
	ds_store_2addr_b64 v15, v[10:11], v[8:9] offset0:13 offset1:229
	;; [unrolled: 1-line block ×3, first 2 shown]
	ds_store_b64 v251, v[2:3] offset:11880
.LBB0_9:
	s_wait_alu 0xfffe
	s_or_b32 exec_lo, exec_lo, s0
	global_wb scope:SCOPE_SE
	s_wait_dscnt 0x0
	s_barrier_signal -1
	s_barrier_wait -1
	global_inv scope:SCOPE_SE
	s_clause 0x2
	scratch_load_b64 v[8:9], off, off th:TH_LOAD_LU
	scratch_load_b64 v[24:25], off, off offset:12 th:TH_LOAD_LU
	scratch_load_b64 v[39:40], off, off offset:20 th:TH_LOAD_LU
	ds_load_2addr_b64 v[0:3], v251 offset1:63
	v_add_nc_u32_e32 v4, 0x1400, v251
	v_add_nc_u32_e32 v12, 0x1800, v251
	s_clause 0x4
	scratch_load_b64 v[27:28], off, off offset:60 th:TH_LOAD_LU
	scratch_load_b64 v[41:42], off, off offset:52 th:TH_LOAD_LU
	scratch_load_b64 v[35:36], off, off offset:44 th:TH_LOAD_LU
	scratch_load_b64 v[37:38], off, off offset:28 th:TH_LOAD_LU
	scratch_load_b64 v[48:49], off, off offset:172 th:TH_LOAD_LU
	v_add_nc_u32_e32 v30, 0x400, v251
	v_mad_co_u64_u32 v[18:19], null, s4, v218, 0
	s_mov_b32 s0, 0x6b015ac0
	s_mov_b32 s1, 0x3f45ac05
	scratch_load_b64 v[52:53], off, off offset:164 th:TH_LOAD_LU ; 8-byte Folded Reload
	s_wait_loadcnt 0x8
	v_mov_b32_e32 v31, v8
	ds_load_2addr_b64 v[8:11], v251 offset0:126 offset1:189
	s_wait_loadcnt_dscnt 0x701
	v_mul_f32_e32 v20, v25, v1
	v_mul_f32_e32 v21, v25, v0
	scratch_load_b64 v[25:26], off, off offset:36 th:TH_LOAD_LU ; 8-byte Folded Reload
	ds_load_2addr_b64 v[4:7], v4 offset0:116 offset1:179
	s_wait_loadcnt 0x6
	v_mul_f32_e32 v22, v28, v3
	v_mul_f32_e32 v23, v28, v2
	v_mad_co_u64_u32 v[16:17], null, s6, v31, 0
	ds_load_2addr_b64 v[12:15], v12 offset0:114 offset1:177
	s_wait_loadcnt_dscnt 0x502
	v_dual_mul_f32 v33, v42, v10 :: v_dual_fmac_f32 v20, v24, v0
	v_fma_f32 v0, v24, v1, -v21
	s_wait_loadcnt_dscnt 0x200
	v_mul_f32_e32 v44, v49, v15
	v_mul_f32_e32 v45, v49, v14
	scratch_load_b64 v[49:50], off, off offset:196 th:TH_LOAD_LU ; 8-byte Folded Reload
	s_wait_loadcnt 0x1
	v_dual_fmac_f32 v44, v48, v14 :: v_dual_mul_f32 v1, v26, v5
	v_mul_f32_e32 v24, v26, v4
	v_fmac_f32_e32 v22, v27, v2
	v_fma_f32 v2, v27, v3, -v23
	s_delay_alu instid0(VALU_DEP_4) | instskip(NEXT) | instid1(VALU_DEP_4)
	v_fmac_f32_e32 v1, v25, v4
	v_fma_f32 v3, v25, v5, -v24
	v_cvt_f64_f32_e32 v[4:5], v0
	s_delay_alu instid0(VALU_DEP_4)
	v_cvt_f64_f32_e32 v[24:25], v2
	v_cvt_f64_f32_e32 v[22:23], v22
	;; [unrolled: 1-line block ×4, first 2 shown]
	ds_load_2addr_b64 v[0:3], v30 offset0:124 offset1:187
	v_mad_co_u64_u32 v[30:31], null, s7, v31, v[17:18]
	s_mul_u64 s[6:7], s[4:5], 0x17a0
	s_delay_alu instid0(VALU_DEP_1)
	v_mov_b32_e32 v17, v30
	v_cvt_f64_f32_e32 v[20:21], v20
	v_mul_f32_e32 v30, v38, v7
	s_wait_loadcnt_dscnt 0x0
	v_mul_f32_e32 v47, v50, v0
	v_mul_f32_e32 v46, v50, v1
	s_delay_alu instid0(VALU_DEP_1)
	v_fmac_f32_e32 v46, v49, v0
	s_wait_alu 0xfffe
	v_mul_f64_e32 v[24:25], s[0:1], v[24:25]
	v_mul_f64_e32 v[22:23], s[0:1], v[22:23]
	;; [unrolled: 1-line block ×4, first 2 shown]
	v_mad_co_u64_u32 v[31:32], null, s5, v218, v[19:20]
	v_mul_f32_e32 v32, v36, v8
	v_dual_mul_f32 v19, v36, v9 :: v_dual_mul_f32 v36, v42, v11
	v_mul_f32_e32 v34, v38, v6
	v_mul_f32_e32 v38, v40, v13
	s_delay_alu instid0(VALU_DEP_4) | instskip(NEXT) | instid1(VALU_DEP_4)
	v_fma_f32 v32, v35, v9, -v32
	v_fmac_f32_e32 v19, v35, v8
	v_dual_mul_f32 v35, v40, v12 :: v_dual_fmac_f32 v30, v37, v6
	v_fmac_f32_e32 v36, v41, v10
	v_fma_f32 v42, v41, v11, -v33
	s_delay_alu instid0(VALU_DEP_4)
	v_cvt_f64_f32_e32 v[8:9], v19
	v_mov_b32_e32 v19, v31
	v_fma_f32 v6, v37, v7, -v34
	v_cvt_f64_f32_e32 v[10:11], v32
	v_fmac_f32_e32 v38, v39, v12
	v_fma_f32 v7, v39, v13, -v35
	v_cvt_f64_f32_e32 v[12:13], v30
	v_cvt_f64_f32_e32 v[32:33], v6
	v_fma_f32 v6, v48, v15, -v45
	v_fma_f32 v30, v49, v1, -v47
	scratch_load_b64 v[47:48], off, off offset:148 th:TH_LOAD_LU ; 8-byte Folded Reload
	v_mul_f64_e32 v[20:21], s[0:1], v[20:21]
	v_mul_f64_e32 v[34:35], s[0:1], v[4:5]
	v_cvt_f64_f32_e32 v[38:39], v38
	v_cvt_f64_f32_e32 v[40:41], v7
	v_cvt_f64_f32_e32 v[42:43], v42
	v_lshlrev_b64_e32 v[4:5], 3, v[16:17]
	v_cvt_f64_f32_e32 v[0:1], v6
	v_lshlrev_b64_e32 v[6:7], 3, v[18:19]
	v_cvt_f64_f32_e32 v[14:15], v44
	v_add_nc_u32_e32 v44, 0x1c00, v251
	v_cvt_f64_f32_e32 v[18:19], v30
	v_add_co_u32 v4, vcc_lo, s2, v4
	s_wait_alu 0xfffd
	v_add_co_ci_u32_e32 v5, vcc_lo, s3, v5, vcc_lo
	v_cvt_f32_f64_e32 v22, v[22:23]
	v_cvt_f32_f64_e32 v23, v[24:25]
	;; [unrolled: 1-line block ×4, first 2 shown]
	s_movk_i32 s2, 0xea58
	s_mov_b32 s3, -1
	v_cvt_f64_f32_e32 v[16:17], v46
	v_add_nc_u32_e32 v46, 0x800, v251
	s_wait_alu 0xfffe
	s_mul_u64 s[2:3], s[4:5], s[2:3]
	v_add_co_u32 v30, vcc_lo, v4, v6
	s_wait_alu 0xfffd
	v_add_co_ci_u32_e32 v31, vcc_lo, v5, v7, vcc_lo
	ds_load_2addr_b64 v[4:7], v44 offset0:112 offset1:175
	v_mul_f64_e32 v[26:27], s[0:1], v[8:9]
	v_mul_f64_e32 v[28:29], s[0:1], v[10:11]
	ds_load_2addr_b64 v[8:11], v46 offset0:122 offset1:185
	v_add_co_u32 v44, vcc_lo, v30, s6
	v_mul_f64_e32 v[32:33], s[0:1], v[32:33]
	s_wait_alu 0xfffd
	v_add_co_ci_u32_e32 v45, vcc_lo, s7, v31, vcc_lo
	v_mul_f64_e32 v[12:13], s[0:1], v[12:13]
	v_cvt_f32_f64_e32 v20, v[20:21]
	v_cvt_f32_f64_e32 v21, v[34:35]
	v_mul_f64_e32 v[34:35], s[0:1], v[38:39]
	v_mul_f64_e32 v[38:39], s[0:1], v[40:41]
	;; [unrolled: 1-line block ×6, first 2 shown]
	v_cvt_f32_f64_e32 v12, v[12:13]
	v_cvt_f32_f64_e32 v13, v[32:33]
	s_wait_alu 0xfffe
	v_add_co_u32 v32, vcc_lo, v44, s2
	s_wait_alu 0xfffd
	v_add_co_ci_u32_e32 v33, vcc_lo, s3, v45, vcc_lo
	v_cvt_f32_f64_e32 v14, v[14:15]
	v_cvt_f32_f64_e32 v15, v[0:1]
	v_add_co_u32 v0, vcc_lo, v32, s6
	s_wait_alu 0xfffd
	v_add_co_ci_u32_e32 v1, vcc_lo, s7, v33, vcc_lo
	v_cvt_f32_f64_e32 v16, v[16:17]
	s_wait_loadcnt_dscnt 0x1
	v_mul_f32_e32 v42, v48, v5
	v_mul_f32_e32 v43, v48, v4
	scratch_load_b64 v[48:49], off, off offset:188 th:TH_LOAD_LU ; 8-byte Folded Reload
	v_cvt_f64_f32_e32 v[36:37], v36
	v_fmac_f32_e32 v42, v47, v4
	v_fma_f32 v43, v47, v5, -v43
	v_mul_f64_e32 v[4:5], s[0:1], v[18:19]
	s_delay_alu instid0(VALU_DEP_3) | instskip(NEXT) | instid1(VALU_DEP_3)
	v_cvt_f64_f32_e32 v[18:19], v42
	v_cvt_f64_f32_e32 v[42:43], v43
	v_mul_f64_e32 v[36:37], s[0:1], v[36:37]
	s_delay_alu instid0(VALU_DEP_4) | instskip(NEXT) | instid1(VALU_DEP_4)
	v_cvt_f32_f64_e32 v17, v[4:5]
	v_mul_f64_e32 v[4:5], s[0:1], v[18:19]
	s_delay_alu instid0(VALU_DEP_4) | instskip(SKIP_2) | instid1(VALU_DEP_1)
	v_mul_f64_e32 v[18:19], s[0:1], v[42:43]
	s_wait_loadcnt 0x0
	v_mul_f32_e32 v46, v49, v3
	v_fmac_f32_e32 v46, v48, v2
	v_mul_f32_e32 v2, v49, v2
	v_mul_f32_e32 v49, v53, v6
	s_delay_alu instid0(VALU_DEP_3) | instskip(NEXT) | instid1(VALU_DEP_3)
	v_cvt_f64_f32_e32 v[46:47], v46
	v_fma_f32 v2, v48, v3, -v2
	v_mul_f32_e32 v48, v53, v7
	scratch_load_b64 v[53:54], off, off offset:180 th:TH_LOAD_LU ; 8-byte Folded Reload
	v_fma_f32 v49, v52, v7, -v49
	s_clause 0x2
	global_store_b64 v[30:31], v[20:21], off
	global_store_b64 v[44:45], v[24:25], off
	;; [unrolled: 1-line block ×3, first 2 shown]
	v_cvt_f32_f64_e32 v20, v[26:27]
	v_cvt_f32_f64_e32 v21, v[28:29]
	;; [unrolled: 1-line block ×6, first 2 shown]
	v_add_co_u32 v30, vcc_lo, v0, s2
	global_store_b64 v[0:1], v[12:13], off
	v_add_nc_u32_e32 v0, 0x2000, v251
	s_wait_alu 0xfffd
	v_add_co_ci_u32_e32 v31, vcc_lo, s3, v1, vcc_lo
	v_fmac_f32_e32 v48, v52, v6
	v_cvt_f64_f32_e32 v[2:3], v2
	s_delay_alu instid0(VALU_DEP_2) | instskip(SKIP_1) | instid1(VALU_DEP_3)
	v_cvt_f64_f32_e32 v[6:7], v48
	v_mul_f64_e32 v[26:27], s[0:1], v[46:47]
	v_mul_f64_e32 v[28:29], s[0:1], v[2:3]
	ds_load_2addr_b64 v[0:3], v0 offset0:110 offset1:173
	v_mul_f64_e32 v[32:33], s[0:1], v[6:7]
	v_add_co_u32 v6, vcc_lo, v30, s6
	s_wait_alu 0xfffd
	v_add_co_ci_u32_e32 v7, vcc_lo, s7, v31, vcc_lo
	s_delay_alu instid0(VALU_DEP_2) | instskip(SKIP_1) | instid1(VALU_DEP_2)
	v_add_co_u32 v12, vcc_lo, v6, s2
	s_wait_alu 0xfffd
	v_add_co_ci_u32_e32 v13, vcc_lo, s3, v7, vcc_lo
	s_delay_alu instid0(VALU_DEP_2) | instskip(SKIP_1) | instid1(VALU_DEP_2)
	;; [unrolled: 4-line block ×3, first 2 shown]
	v_add_co_u32 v40, vcc_lo, v38, s2
	s_wait_alu 0xfffd
	v_add_co_ci_u32_e32 v41, vcc_lo, s3, v39, vcc_lo
	global_store_b64 v[30:31], v[20:21], off
	global_store_b64 v[6:7], v[22:23], off
	;; [unrolled: 1-line block ×5, first 2 shown]
	v_cvt_f32_f64_e32 v17, v[18:19]
	v_cvt_f32_f64_e32 v16, v[4:5]
	v_add_nc_u32_e32 v4, 0xc00, v251
	s_clause 0x3
	scratch_load_b64 v[13:14], off, off offset:68 th:TH_LOAD_LU
	scratch_load_b64 v[30:31], off, off offset:116 th:TH_LOAD_LU
	;; [unrolled: 1-line block ×4, first 2 shown]
	v_add_co_u32 v18, vcc_lo, v40, s6
	s_wait_alu 0xfffd
	v_add_co_ci_u32_e32 v19, vcc_lo, s7, v41, vcc_lo
	ds_load_2addr_b64 v[4:7], v4 offset0:120 offset1:183
	v_cvt_f32_f64_e32 v20, v[26:27]
	v_cvt_f32_f64_e32 v21, v[28:29]
	;; [unrolled: 1-line block ×3, first 2 shown]
	s_wait_loadcnt_dscnt 0x402
	v_mul_f32_e32 v50, v54, v9
	v_mul_f32_e32 v51, v54, v8
	scratch_load_b64 v[54:55], off, off offset:76 th:TH_LOAD_LU ; 8-byte Folded Reload
	v_fmac_f32_e32 v50, v53, v8
	v_fma_f32 v51, v53, v9, -v51
	v_cvt_f64_f32_e32 v[8:9], v49
	s_delay_alu instid0(VALU_DEP_3) | instskip(NEXT) | instid1(VALU_DEP_3)
	v_cvt_f64_f32_e32 v[48:49], v50
	v_cvt_f64_f32_e32 v[50:51], v51
	s_delay_alu instid0(VALU_DEP_3) | instskip(NEXT) | instid1(VALU_DEP_3)
	v_mul_f64_e32 v[8:9], s[0:1], v[8:9]
	v_mul_f64_e32 v[34:35], s[0:1], v[48:49]
	scratch_load_b64 v[47:48], off, off offset:156 th:TH_LOAD_LU ; 8-byte Folded Reload
	v_mul_f64_e32 v[36:37], s[0:1], v[50:51]
	scratch_load_b64 v[49:50], off, off offset:124 th:TH_LOAD_LU ; 8-byte Folded Reload
	s_wait_loadcnt_dscnt 0x601
	v_mul_f32_e32 v12, v14, v1
	v_cvt_f32_f64_e32 v23, v[8:9]
	v_mul_f32_e32 v8, v14, v0
	v_cvt_f32_f64_e32 v24, v[34:35]
	s_delay_alu instid0(VALU_DEP_4) | instskip(SKIP_1) | instid1(VALU_DEP_4)
	v_fmac_f32_e32 v12, v13, v0
	v_add_nc_u32_e32 v0, 0x2400, v251
	v_fma_f32 v1, v13, v1, -v8
	v_cvt_f32_f64_e32 v25, v[36:37]
	s_delay_alu instid0(VALU_DEP_4)
	v_cvt_f64_f32_e32 v[26:27], v12
	ds_load_2addr_b64 v[12:15], v0 offset0:108 offset1:171
	v_cvt_f64_f32_e32 v[28:29], v1
	s_wait_loadcnt_dscnt 0x400
	v_mul_f32_e32 v40, v45, v13
	v_mul_f32_e32 v41, v45, v12
	scratch_load_b64 v[45:46], off, off offset:140 th:TH_LOAD_LU ; 8-byte Folded Reload
	v_mul_f32_e32 v9, v31, v11
	v_mul_f32_e32 v8, v31, v10
	v_fmac_f32_e32 v40, v44, v12
	v_fma_f32 v12, v44, v13, -v41
	s_delay_alu instid0(VALU_DEP_4) | instskip(NEXT) | instid1(VALU_DEP_4)
	v_fmac_f32_e32 v9, v30, v10
	v_fma_f32 v0, v30, v11, -v8
	scratch_load_b64 v[10:11], off, off offset:92 th:TH_LOAD_LU ; 8-byte Folded Reload
	v_cvt_f64_f32_e32 v[12:13], v12
	v_cvt_f64_f32_e32 v[30:31], v9
	;; [unrolled: 1-line block ×3, first 2 shown]
	v_mul_f64_e32 v[26:27], s[0:1], v[26:27]
	v_mul_f64_e32 v[28:29], s[0:1], v[28:29]
	;; [unrolled: 1-line block ×5, first 2 shown]
	v_cvt_f32_f64_e32 v26, v[26:27]
	v_cvt_f32_f64_e32 v27, v[28:29]
	s_delay_alu instid0(VALU_DEP_4) | instskip(NEXT) | instid1(VALU_DEP_4)
	v_cvt_f32_f64_e32 v30, v[30:31]
	v_cvt_f32_f64_e32 v31, v[32:33]
	s_wait_loadcnt 0x2
	v_dual_mul_f32 v9, v48, v5 :: v_dual_mul_f32 v44, v50, v15
	s_delay_alu instid0(VALU_DEP_1) | instskip(SKIP_1) | instid1(VALU_DEP_3)
	v_fmac_f32_e32 v9, v47, v4
	v_mul_f32_e32 v4, v48, v4
	v_fmac_f32_e32 v44, v49, v14
	s_delay_alu instid0(VALU_DEP_3) | instskip(NEXT) | instid1(VALU_DEP_3)
	v_cvt_f64_f32_e32 v[38:39], v9
	v_fma_f32 v4, v47, v5, -v4
	s_delay_alu instid0(VALU_DEP_1) | instskip(NEXT) | instid1(VALU_DEP_3)
	v_cvt_f64_f32_e32 v[4:5], v4
	v_mul_f64_e32 v[38:39], s[0:1], v[38:39]
	s_delay_alu instid0(VALU_DEP_2) | instskip(SKIP_3) | instid1(VALU_DEP_2)
	v_mul_f64_e32 v[4:5], s[0:1], v[4:5]
	s_wait_loadcnt 0x1
	v_mul_f32_e32 v42, v46, v7
	v_mul_f32_e32 v43, v46, v6
	v_fmac_f32_e32 v42, v45, v6
	s_delay_alu instid0(VALU_DEP_2)
	v_fma_f32 v43, v45, v7, -v43
	v_mul_f32_e32 v45, v50, v14
	s_wait_loadcnt 0x0
	v_mul_f32_e32 v8, v11, v2
	v_mul_f32_e32 v1, v11, v3
	scratch_load_b64 v[50:51], off, off offset:132 th:TH_LOAD_LU ; 8-byte Folded Reload
	v_cvt_f64_f32_e32 v[6:7], v40
	v_fma_f32 v14, v49, v15, -v45
	v_fma_f32 v0, v10, v3, -v8
	v_dual_fmac_f32 v1, v10, v2 :: v_dual_add_nc_u32 v8, 0x2800, v251
	v_add_nc_u32_e32 v2, 0x1000, v251
	v_cvt_f64_f32_e32 v[40:41], v42
	v_cvt_f64_f32_e32 v[42:43], v43
	ds_load_2addr_b64 v[8:11], v8 offset0:106 offset1:169
	v_cvt_f64_f32_e32 v[34:35], v1
	v_cvt_f64_f32_e32 v[36:37], v0
	ds_load_2addr_b64 v[0:3], v2 offset0:118 offset1:181
	v_cvt_f64_f32_e32 v[14:15], v14
	v_cvt_f32_f64_e32 v38, v[38:39]
	v_cvt_f32_f64_e32 v39, v[4:5]
	;; [unrolled: 1-line block ×3, first 2 shown]
	s_wait_dscnt 0x1
	v_mul_f32_e32 v48, v55, v9
	s_delay_alu instid0(VALU_DEP_1)
	v_fmac_f32_e32 v48, v54, v8
	v_mul_f32_e32 v8, v55, v8
	scratch_load_b64 v[55:56], off, off offset:100 th:TH_LOAD_LU ; 8-byte Folded Reload
	v_mul_f64_e32 v[6:7], s[0:1], v[6:7]
	v_fma_f32 v8, v54, v9, -v8
	v_cvt_f64_f32_e32 v[48:49], v48
	v_add_co_u32 v54, vcc_lo, v18, s2
	v_mul_f64_e32 v[34:35], s[0:1], v[34:35]
	v_mul_f64_e32 v[36:37], s[0:1], v[36:37]
	;; [unrolled: 1-line block ×3, first 2 shown]
	v_cvt_f32_f64_e32 v4, v[6:7]
	s_delay_alu instid0(VALU_DEP_4) | instskip(NEXT) | instid1(VALU_DEP_4)
	v_cvt_f32_f64_e32 v34, v[34:35]
	v_cvt_f32_f64_e32 v35, v[36:37]
	s_wait_loadcnt_dscnt 0x100
	v_mul_f32_e32 v46, v51, v1
	v_mul_f32_e32 v47, v51, v0
	;; [unrolled: 1-line block ×3, first 2 shown]
	s_delay_alu instid0(VALU_DEP_3) | instskip(NEXT) | instid1(VALU_DEP_3)
	v_fmac_f32_e32 v46, v50, v0
	v_fma_f32 v47, v50, v1, -v47
	v_mul_f32_e32 v50, v58, v3
	s_delay_alu instid0(VALU_DEP_4)
	v_fma_f32 v51, v57, v3, -v51
	v_cvt_f64_f32_e32 v[0:1], v44
	v_cvt_f64_f32_e32 v[44:45], v46
	;; [unrolled: 1-line block ×3, first 2 shown]
	v_fmac_f32_e32 v50, v57, v2
	v_cvt_f64_f32_e32 v[2:3], v8
	s_delay_alu instid0(VALU_DEP_2) | instskip(SKIP_3) | instid1(VALU_DEP_2)
	v_cvt_f64_f32_e32 v[8:9], v50
	s_wait_loadcnt 0x0
	v_mul_f32_e32 v52, v56, v11
	v_mul_f32_e32 v53, v56, v10
	v_fmac_f32_e32 v52, v55, v10
	s_delay_alu instid0(VALU_DEP_2)
	v_fma_f32 v53, v55, v11, -v53
	v_cvt_f64_f32_e32 v[10:11], v51
	s_wait_alu 0xfffd
	v_add_co_ci_u32_e32 v55, vcc_lo, s3, v19, vcc_lo
	v_add_co_u32 v56, vcc_lo, v54, s6
	v_mul_f64_e32 v[0:1], s[0:1], v[0:1]
	v_cvt_f64_f32_e32 v[50:51], v52
	v_cvt_f64_f32_e32 v[52:53], v53
	s_wait_alu 0xfffd
	v_add_co_ci_u32_e32 v57, vcc_lo, s7, v55, vcc_lo
	v_add_co_u32 v58, vcc_lo, v56, s2
	v_mul_f64_e32 v[2:3], s[0:1], v[2:3]
	s_wait_alu 0xfffd
	s_delay_alu instid0(VALU_DEP_3) | instskip(NEXT) | instid1(VALU_DEP_3)
	v_add_co_ci_u32_e32 v59, vcc_lo, s3, v57, vcc_lo
	v_add_co_u32 v28, vcc_lo, v58, s6
	global_store_b64 v[18:19], v[16:17], off
	global_store_b64 v[54:55], v[20:21], off
	;; [unrolled: 1-line block ×4, first 2 shown]
	v_mul_f64_e32 v[16:17], s[0:1], v[40:41]
	v_mul_f64_e32 v[18:19], s[0:1], v[42:43]
	;; [unrolled: 1-line block ×6, first 2 shown]
	s_wait_alu 0xfffd
	v_add_co_ci_u32_e32 v29, vcc_lo, s7, v59, vcc_lo
	v_add_co_u32 v32, vcc_lo, v28, s2
	s_wait_alu 0xfffd
	s_delay_alu instid0(VALU_DEP_2)
	v_add_co_ci_u32_e32 v33, vcc_lo, s3, v29, vcc_lo
	global_store_b64 v[28:29], v[26:27], off
	v_add_co_u32 v36, vcc_lo, v32, s6
	s_wait_alu 0xfffd
	v_add_co_ci_u32_e32 v37, vcc_lo, s7, v33, vcc_lo
	global_store_b64 v[32:33], v[30:31], off
	v_add_co_u32 v6, vcc_lo, v36, s2
	s_wait_alu 0xfffd
	v_add_co_ci_u32_e32 v7, vcc_lo, s3, v37, vcc_lo
	global_store_b64 v[36:37], v[34:35], off
	v_mul_f64_e32 v[10:11], s[0:1], v[10:11]
	v_cvt_f32_f64_e32 v0, v[0:1]
	v_cvt_f32_f64_e32 v1, v[14:15]
	global_store_b64 v[6:7], v[38:39], off
	v_mul_f64_e32 v[40:41], s[0:1], v[50:51]
	v_mul_f64_e32 v[42:43], s[0:1], v[52:53]
	v_cvt_f32_f64_e32 v12, v[16:17]
	v_cvt_f32_f64_e32 v13, v[18:19]
	;; [unrolled: 1-line block ×8, first 2 shown]
	v_add_co_u32 v10, vcc_lo, v6, s6
	s_wait_alu 0xfffd
	v_add_co_ci_u32_e32 v11, vcc_lo, s7, v7, vcc_lo
	v_cvt_f32_f64_e32 v8, v[40:41]
	v_cvt_f32_f64_e32 v9, v[42:43]
	v_add_co_u32 v18, vcc_lo, v10, s2
	s_wait_alu 0xfffd
	v_add_co_ci_u32_e32 v19, vcc_lo, s3, v11, vcc_lo
	global_store_b64 v[10:11], v[4:5], off
	v_add_co_u32 v20, vcc_lo, v18, s6
	s_wait_alu 0xfffd
	v_add_co_ci_u32_e32 v21, vcc_lo, s7, v19, vcc_lo
	global_store_b64 v[18:19], v[12:13], off
	v_add_co_u32 v22, vcc_lo, v20, s2
	s_wait_alu 0xfffd
	v_add_co_ci_u32_e32 v23, vcc_lo, s3, v21, vcc_lo
	s_delay_alu instid0(VALU_DEP_2) | instskip(SKIP_1) | instid1(VALU_DEP_2)
	v_add_co_u32 v6, vcc_lo, v22, s6
	s_wait_alu 0xfffd
	v_add_co_ci_u32_e32 v7, vcc_lo, s7, v23, vcc_lo
	s_delay_alu instid0(VALU_DEP_2) | instskip(SKIP_1) | instid1(VALU_DEP_2)
	;; [unrolled: 4-line block ×3, first 2 shown]
	v_add_co_u32 v10, vcc_lo, v4, s6
	s_wait_alu 0xfffd
	v_add_co_ci_u32_e32 v11, vcc_lo, s7, v5, vcc_lo
	global_store_b64 v[20:21], v[0:1], off
	global_store_b64 v[22:23], v[14:15], off
	;; [unrolled: 1-line block ×5, first 2 shown]
.LBB0_10:
	s_nop 0
	s_sendmsg sendmsg(MSG_DEALLOC_VGPRS)
	s_endpgm
	.section	.rodata,"a",@progbits
	.p2align	6, 0x0
	.amdhsa_kernel bluestein_single_fwd_len1512_dim1_sp_op_CI_CI
		.amdhsa_group_segment_fixed_size 12096
		.amdhsa_private_segment_fixed_size 464
		.amdhsa_kernarg_size 104
		.amdhsa_user_sgpr_count 2
		.amdhsa_user_sgpr_dispatch_ptr 0
		.amdhsa_user_sgpr_queue_ptr 0
		.amdhsa_user_sgpr_kernarg_segment_ptr 1
		.amdhsa_user_sgpr_dispatch_id 0
		.amdhsa_user_sgpr_private_segment_size 0
		.amdhsa_wavefront_size32 1
		.amdhsa_uses_dynamic_stack 0
		.amdhsa_enable_private_segment 1
		.amdhsa_system_sgpr_workgroup_id_x 1
		.amdhsa_system_sgpr_workgroup_id_y 0
		.amdhsa_system_sgpr_workgroup_id_z 0
		.amdhsa_system_sgpr_workgroup_info 0
		.amdhsa_system_vgpr_workitem_id 0
		.amdhsa_next_free_vgpr 256
		.amdhsa_next_free_sgpr 20
		.amdhsa_reserve_vcc 1
		.amdhsa_float_round_mode_32 0
		.amdhsa_float_round_mode_16_64 0
		.amdhsa_float_denorm_mode_32 3
		.amdhsa_float_denorm_mode_16_64 3
		.amdhsa_fp16_overflow 0
		.amdhsa_workgroup_processor_mode 1
		.amdhsa_memory_ordered 1
		.amdhsa_forward_progress 0
		.amdhsa_round_robin_scheduling 0
		.amdhsa_exception_fp_ieee_invalid_op 0
		.amdhsa_exception_fp_denorm_src 0
		.amdhsa_exception_fp_ieee_div_zero 0
		.amdhsa_exception_fp_ieee_overflow 0
		.amdhsa_exception_fp_ieee_underflow 0
		.amdhsa_exception_fp_ieee_inexact 0
		.amdhsa_exception_int_div_zero 0
	.end_amdhsa_kernel
	.text
.Lfunc_end0:
	.size	bluestein_single_fwd_len1512_dim1_sp_op_CI_CI, .Lfunc_end0-bluestein_single_fwd_len1512_dim1_sp_op_CI_CI
                                        ; -- End function
	.section	.AMDGPU.csdata,"",@progbits
; Kernel info:
; codeLenInByte = 30776
; NumSgprs: 22
; NumVgprs: 256
; ScratchSize: 464
; MemoryBound: 0
; FloatMode: 240
; IeeeMode: 1
; LDSByteSize: 12096 bytes/workgroup (compile time only)
; SGPRBlocks: 2
; VGPRBlocks: 31
; NumSGPRsForWavesPerEU: 22
; NumVGPRsForWavesPerEU: 256
; Occupancy: 5
; WaveLimiterHint : 1
; COMPUTE_PGM_RSRC2:SCRATCH_EN: 1
; COMPUTE_PGM_RSRC2:USER_SGPR: 2
; COMPUTE_PGM_RSRC2:TRAP_HANDLER: 0
; COMPUTE_PGM_RSRC2:TGID_X_EN: 1
; COMPUTE_PGM_RSRC2:TGID_Y_EN: 0
; COMPUTE_PGM_RSRC2:TGID_Z_EN: 0
; COMPUTE_PGM_RSRC2:TIDIG_COMP_CNT: 0
	.text
	.p2alignl 7, 3214868480
	.fill 96, 4, 3214868480
	.type	__hip_cuid_42d61bf51aaaa494,@object ; @__hip_cuid_42d61bf51aaaa494
	.section	.bss,"aw",@nobits
	.globl	__hip_cuid_42d61bf51aaaa494
__hip_cuid_42d61bf51aaaa494:
	.byte	0                               ; 0x0
	.size	__hip_cuid_42d61bf51aaaa494, 1

	.ident	"AMD clang version 19.0.0git (https://github.com/RadeonOpenCompute/llvm-project roc-6.4.0 25133 c7fe45cf4b819c5991fe208aaa96edf142730f1d)"
	.section	".note.GNU-stack","",@progbits
	.addrsig
	.addrsig_sym __hip_cuid_42d61bf51aaaa494
	.amdgpu_metadata
---
amdhsa.kernels:
  - .args:
      - .actual_access:  read_only
        .address_space:  global
        .offset:         0
        .size:           8
        .value_kind:     global_buffer
      - .actual_access:  read_only
        .address_space:  global
        .offset:         8
        .size:           8
        .value_kind:     global_buffer
      - .actual_access:  read_only
        .address_space:  global
        .offset:         16
        .size:           8
        .value_kind:     global_buffer
      - .actual_access:  read_only
        .address_space:  global
        .offset:         24
        .size:           8
        .value_kind:     global_buffer
      - .actual_access:  read_only
        .address_space:  global
        .offset:         32
        .size:           8
        .value_kind:     global_buffer
      - .offset:         40
        .size:           8
        .value_kind:     by_value
      - .address_space:  global
        .offset:         48
        .size:           8
        .value_kind:     global_buffer
      - .address_space:  global
        .offset:         56
        .size:           8
        .value_kind:     global_buffer
      - .address_space:  global
        .offset:         64
        .size:           8
        .value_kind:     global_buffer
      - .address_space:  global
        .offset:         72
        .size:           8
        .value_kind:     global_buffer
      - .offset:         80
        .size:           4
        .value_kind:     by_value
      - .address_space:  global
        .offset:         88
        .size:           8
        .value_kind:     global_buffer
      - .address_space:  global
        .offset:         96
        .size:           8
        .value_kind:     global_buffer
    .group_segment_fixed_size: 12096
    .kernarg_segment_align: 8
    .kernarg_segment_size: 104
    .language:       OpenCL C
    .language_version:
      - 2
      - 0
    .max_flat_workgroup_size: 63
    .name:           bluestein_single_fwd_len1512_dim1_sp_op_CI_CI
    .private_segment_fixed_size: 464
    .sgpr_count:     22
    .sgpr_spill_count: 0
    .symbol:         bluestein_single_fwd_len1512_dim1_sp_op_CI_CI.kd
    .uniform_work_group_size: 1
    .uses_dynamic_stack: false
    .vgpr_count:     256
    .vgpr_spill_count: 115
    .wavefront_size: 32
    .workgroup_processor_mode: 1
amdhsa.target:   amdgcn-amd-amdhsa--gfx1201
amdhsa.version:
  - 1
  - 2
...

	.end_amdgpu_metadata
